;; amdgpu-corpus repo=ROCm/rocFFT kind=compiled arch=gfx1030 opt=O3
	.text
	.amdgcn_target "amdgcn-amd-amdhsa--gfx1030"
	.amdhsa_code_object_version 6
	.protected	fft_rtc_fwd_len3000_factors_10_3_10_10_wgs_100_tpt_100_halfLds_dp_op_CI_CI_unitstride_sbrr_R2C_dirReg ; -- Begin function fft_rtc_fwd_len3000_factors_10_3_10_10_wgs_100_tpt_100_halfLds_dp_op_CI_CI_unitstride_sbrr_R2C_dirReg
	.globl	fft_rtc_fwd_len3000_factors_10_3_10_10_wgs_100_tpt_100_halfLds_dp_op_CI_CI_unitstride_sbrr_R2C_dirReg
	.p2align	8
	.type	fft_rtc_fwd_len3000_factors_10_3_10_10_wgs_100_tpt_100_halfLds_dp_op_CI_CI_unitstride_sbrr_R2C_dirReg,@function
fft_rtc_fwd_len3000_factors_10_3_10_10_wgs_100_tpt_100_halfLds_dp_op_CI_CI_unitstride_sbrr_R2C_dirReg: ; @fft_rtc_fwd_len3000_factors_10_3_10_10_wgs_100_tpt_100_halfLds_dp_op_CI_CI_unitstride_sbrr_R2C_dirReg
; %bb.0:
	s_clause 0x2
	s_load_dwordx4 s[12:15], s[4:5], 0x0
	s_load_dwordx4 s[8:11], s[4:5], 0x58
	;; [unrolled: 1-line block ×3, first 2 shown]
	v_mul_u32_u24_e32 v1, 0x290, v0
	v_mov_b32_e32 v3, 0
	v_add_nc_u32_sdwa v5, s6, v1 dst_sel:DWORD dst_unused:UNUSED_PAD src0_sel:DWORD src1_sel:WORD_1
	v_mov_b32_e32 v1, 0
	v_mov_b32_e32 v6, v3
	v_mov_b32_e32 v2, 0
	s_waitcnt lgkmcnt(0)
	v_cmp_lt_u64_e64 s0, s[14:15], 2
	s_and_b32 vcc_lo, exec_lo, s0
	s_cbranch_vccnz .LBB0_8
; %bb.1:
	s_load_dwordx2 s[0:1], s[4:5], 0x10
	v_mov_b32_e32 v1, 0
	v_mov_b32_e32 v2, 0
	s_add_u32 s2, s18, 8
	s_addc_u32 s3, s19, 0
	s_add_u32 s6, s16, 8
	s_addc_u32 s7, s17, 0
	v_mov_b32_e32 v67, v2
	v_mov_b32_e32 v66, v1
	s_mov_b64 s[22:23], 1
	s_waitcnt lgkmcnt(0)
	s_add_u32 s20, s0, 8
	s_addc_u32 s21, s1, 0
.LBB0_2:                                ; =>This Inner Loop Header: Depth=1
	s_load_dwordx2 s[24:25], s[20:21], 0x0
                                        ; implicit-def: $vgpr70_vgpr71
	s_mov_b32 s0, exec_lo
	s_waitcnt lgkmcnt(0)
	v_or_b32_e32 v4, s25, v6
	v_cmpx_ne_u64_e32 0, v[3:4]
	s_xor_b32 s1, exec_lo, s0
	s_cbranch_execz .LBB0_4
; %bb.3:                                ;   in Loop: Header=BB0_2 Depth=1
	v_cvt_f32_u32_e32 v4, s24
	v_cvt_f32_u32_e32 v7, s25
	s_sub_u32 s0, 0, s24
	s_subb_u32 s26, 0, s25
	v_fmac_f32_e32 v4, 0x4f800000, v7
	v_rcp_f32_e32 v4, v4
	v_mul_f32_e32 v4, 0x5f7ffffc, v4
	v_mul_f32_e32 v7, 0x2f800000, v4
	v_trunc_f32_e32 v7, v7
	v_fmac_f32_e32 v4, 0xcf800000, v7
	v_cvt_u32_f32_e32 v7, v7
	v_cvt_u32_f32_e32 v4, v4
	v_mul_lo_u32 v8, s0, v7
	v_mul_hi_u32 v9, s0, v4
	v_mul_lo_u32 v10, s26, v4
	v_add_nc_u32_e32 v8, v9, v8
	v_mul_lo_u32 v9, s0, v4
	v_add_nc_u32_e32 v8, v8, v10
	v_mul_hi_u32 v10, v4, v9
	v_mul_lo_u32 v11, v4, v8
	v_mul_hi_u32 v12, v4, v8
	v_mul_hi_u32 v13, v7, v9
	v_mul_lo_u32 v9, v7, v9
	v_mul_hi_u32 v14, v7, v8
	v_mul_lo_u32 v8, v7, v8
	v_add_co_u32 v10, vcc_lo, v10, v11
	v_add_co_ci_u32_e32 v11, vcc_lo, 0, v12, vcc_lo
	v_add_co_u32 v9, vcc_lo, v10, v9
	v_add_co_ci_u32_e32 v9, vcc_lo, v11, v13, vcc_lo
	v_add_co_ci_u32_e32 v10, vcc_lo, 0, v14, vcc_lo
	v_add_co_u32 v8, vcc_lo, v9, v8
	v_add_co_ci_u32_e32 v9, vcc_lo, 0, v10, vcc_lo
	v_add_co_u32 v4, vcc_lo, v4, v8
	v_add_co_ci_u32_e32 v7, vcc_lo, v7, v9, vcc_lo
	v_mul_hi_u32 v8, s0, v4
	v_mul_lo_u32 v10, s26, v4
	v_mul_lo_u32 v9, s0, v7
	v_add_nc_u32_e32 v8, v8, v9
	v_mul_lo_u32 v9, s0, v4
	v_add_nc_u32_e32 v8, v8, v10
	v_mul_hi_u32 v10, v4, v9
	v_mul_lo_u32 v11, v4, v8
	v_mul_hi_u32 v12, v4, v8
	v_mul_hi_u32 v13, v7, v9
	v_mul_lo_u32 v9, v7, v9
	v_mul_hi_u32 v14, v7, v8
	v_mul_lo_u32 v8, v7, v8
	v_add_co_u32 v10, vcc_lo, v10, v11
	v_add_co_ci_u32_e32 v11, vcc_lo, 0, v12, vcc_lo
	v_add_co_u32 v9, vcc_lo, v10, v9
	v_add_co_ci_u32_e32 v9, vcc_lo, v11, v13, vcc_lo
	v_add_co_ci_u32_e32 v10, vcc_lo, 0, v14, vcc_lo
	v_add_co_u32 v8, vcc_lo, v9, v8
	v_add_co_ci_u32_e32 v9, vcc_lo, 0, v10, vcc_lo
	v_add_co_u32 v4, vcc_lo, v4, v8
	v_add_co_ci_u32_e32 v11, vcc_lo, v7, v9, vcc_lo
	v_mul_hi_u32 v13, v5, v4
	v_mad_u64_u32 v[9:10], null, v6, v4, 0
	v_mad_u64_u32 v[7:8], null, v5, v11, 0
	;; [unrolled: 1-line block ×3, first 2 shown]
	v_add_co_u32 v4, vcc_lo, v13, v7
	v_add_co_ci_u32_e32 v7, vcc_lo, 0, v8, vcc_lo
	v_add_co_u32 v4, vcc_lo, v4, v9
	v_add_co_ci_u32_e32 v4, vcc_lo, v7, v10, vcc_lo
	v_add_co_ci_u32_e32 v7, vcc_lo, 0, v12, vcc_lo
	v_add_co_u32 v4, vcc_lo, v4, v11
	v_add_co_ci_u32_e32 v9, vcc_lo, 0, v7, vcc_lo
	v_mul_lo_u32 v10, s25, v4
	v_mad_u64_u32 v[7:8], null, s24, v4, 0
	v_mul_lo_u32 v11, s24, v9
	v_sub_co_u32 v7, vcc_lo, v5, v7
	v_add3_u32 v8, v8, v11, v10
	v_sub_nc_u32_e32 v10, v6, v8
	v_subrev_co_ci_u32_e64 v10, s0, s25, v10, vcc_lo
	v_add_co_u32 v11, s0, v4, 2
	v_add_co_ci_u32_e64 v12, s0, 0, v9, s0
	v_sub_co_u32 v13, s0, v7, s24
	v_sub_co_ci_u32_e32 v8, vcc_lo, v6, v8, vcc_lo
	v_subrev_co_ci_u32_e64 v10, s0, 0, v10, s0
	v_cmp_le_u32_e32 vcc_lo, s24, v13
	v_cmp_eq_u32_e64 s0, s25, v8
	v_cndmask_b32_e64 v13, 0, -1, vcc_lo
	v_cmp_le_u32_e32 vcc_lo, s25, v10
	v_cndmask_b32_e64 v14, 0, -1, vcc_lo
	v_cmp_le_u32_e32 vcc_lo, s24, v7
	;; [unrolled: 2-line block ×3, first 2 shown]
	v_cndmask_b32_e64 v15, 0, -1, vcc_lo
	v_cmp_eq_u32_e32 vcc_lo, s25, v10
	v_cndmask_b32_e64 v7, v15, v7, s0
	v_cndmask_b32_e32 v10, v14, v13, vcc_lo
	v_add_co_u32 v13, vcc_lo, v4, 1
	v_add_co_ci_u32_e32 v14, vcc_lo, 0, v9, vcc_lo
	v_cmp_ne_u32_e32 vcc_lo, 0, v10
	v_cndmask_b32_e32 v8, v14, v12, vcc_lo
	v_cndmask_b32_e32 v10, v13, v11, vcc_lo
	v_cmp_ne_u32_e32 vcc_lo, 0, v7
	v_cndmask_b32_e32 v71, v9, v8, vcc_lo
	v_cndmask_b32_e32 v70, v4, v10, vcc_lo
.LBB0_4:                                ;   in Loop: Header=BB0_2 Depth=1
	s_andn2_saveexec_b32 s0, s1
	s_cbranch_execz .LBB0_6
; %bb.5:                                ;   in Loop: Header=BB0_2 Depth=1
	v_cvt_f32_u32_e32 v4, s24
	s_sub_i32 s1, 0, s24
	v_mov_b32_e32 v71, v3
	v_rcp_iflag_f32_e32 v4, v4
	v_mul_f32_e32 v4, 0x4f7ffffe, v4
	v_cvt_u32_f32_e32 v4, v4
	v_mul_lo_u32 v7, s1, v4
	v_mul_hi_u32 v7, v4, v7
	v_add_nc_u32_e32 v4, v4, v7
	v_mul_hi_u32 v4, v5, v4
	v_mul_lo_u32 v7, v4, s24
	v_add_nc_u32_e32 v8, 1, v4
	v_sub_nc_u32_e32 v7, v5, v7
	v_subrev_nc_u32_e32 v9, s24, v7
	v_cmp_le_u32_e32 vcc_lo, s24, v7
	v_cndmask_b32_e32 v7, v7, v9, vcc_lo
	v_cndmask_b32_e32 v4, v4, v8, vcc_lo
	v_cmp_le_u32_e32 vcc_lo, s24, v7
	v_add_nc_u32_e32 v8, 1, v4
	v_cndmask_b32_e32 v70, v4, v8, vcc_lo
.LBB0_6:                                ;   in Loop: Header=BB0_2 Depth=1
	s_or_b32 exec_lo, exec_lo, s0
	v_mul_lo_u32 v4, v71, s24
	v_mul_lo_u32 v9, v70, s25
	s_load_dwordx2 s[0:1], s[6:7], 0x0
	v_mad_u64_u32 v[7:8], null, v70, s24, 0
	s_load_dwordx2 s[24:25], s[2:3], 0x0
	s_add_u32 s22, s22, 1
	s_addc_u32 s23, s23, 0
	s_add_u32 s2, s2, 8
	s_addc_u32 s3, s3, 0
	s_add_u32 s6, s6, 8
	v_add3_u32 v4, v8, v9, v4
	v_sub_co_u32 v5, vcc_lo, v5, v7
	s_addc_u32 s7, s7, 0
	s_add_u32 s20, s20, 8
	v_sub_co_ci_u32_e32 v4, vcc_lo, v6, v4, vcc_lo
	s_addc_u32 s21, s21, 0
	s_waitcnt lgkmcnt(0)
	v_mul_lo_u32 v6, s0, v4
	v_mul_lo_u32 v7, s1, v5
	v_mad_u64_u32 v[1:2], null, s0, v5, v[1:2]
	v_mul_lo_u32 v4, s24, v4
	v_mul_lo_u32 v8, s25, v5
	v_mad_u64_u32 v[66:67], null, s24, v5, v[66:67]
	v_cmp_ge_u64_e64 s0, s[22:23], s[14:15]
	v_add3_u32 v2, v7, v2, v6
	v_add3_u32 v67, v8, v67, v4
	s_and_b32 vcc_lo, exec_lo, s0
	s_cbranch_vccnz .LBB0_9
; %bb.7:                                ;   in Loop: Header=BB0_2 Depth=1
	v_mov_b32_e32 v5, v70
	v_mov_b32_e32 v6, v71
	s_branch .LBB0_2
.LBB0_8:
	v_mov_b32_e32 v67, v2
	v_mov_b32_e32 v71, v6
	;; [unrolled: 1-line block ×4, first 2 shown]
.LBB0_9:
	s_load_dwordx2 s[0:1], s[4:5], 0x28
	v_mul_hi_u32 v3, 0x28f5c29, v0
	s_lshl_b64 s[4:5], s[14:15], 3
                                        ; implicit-def: $vgpr64
                                        ; implicit-def: $vgpr68
                                        ; implicit-def: $vgpr79
                                        ; implicit-def: $vgpr78
                                        ; implicit-def: $vgpr77
                                        ; implicit-def: $vgpr76
                                        ; implicit-def: $vgpr75
                                        ; implicit-def: $vgpr74
                                        ; implicit-def: $vgpr73
                                        ; implicit-def: $vgpr72
	s_add_u32 s2, s18, s4
	s_addc_u32 s3, s19, s5
	s_waitcnt lgkmcnt(0)
	v_cmp_gt_u64_e32 vcc_lo, s[0:1], v[70:71]
	v_cmp_le_u64_e64 s0, s[0:1], v[70:71]
	s_and_saveexec_b32 s1, s0
	s_xor_b32 s0, exec_lo, s1
; %bb.10:
	v_mul_u32_u24_e32 v1, 0x64, v3
                                        ; implicit-def: $vgpr3
	v_sub_nc_u32_e32 v64, v0, v1
                                        ; implicit-def: $vgpr0
                                        ; implicit-def: $vgpr1_vgpr2
	v_add_nc_u32_e32 v68, 0x64, v64
	v_add_nc_u32_e32 v79, 0xc8, v64
	;; [unrolled: 1-line block ×9, first 2 shown]
; %bb.11:
	s_andn2_saveexec_b32 s1, s0
	s_cbranch_execz .LBB0_13
; %bb.12:
	s_add_u32 s4, s16, s4
	s_addc_u32 s5, s17, s5
	v_lshlrev_b64 v[1:2], 4, v[1:2]
	s_load_dwordx2 s[4:5], s[4:5], 0x0
	s_waitcnt lgkmcnt(0)
	v_mul_lo_u32 v6, s5, v70
	v_mul_lo_u32 v7, s4, v71
	v_mad_u64_u32 v[4:5], null, s4, v70, 0
	v_add3_u32 v5, v5, v7, v6
	v_mul_u32_u24_e32 v6, 0x64, v3
	v_lshlrev_b64 v[3:4], 4, v[4:5]
	v_sub_nc_u32_e32 v64, v0, v6
	v_lshlrev_b32_e32 v65, 4, v64
	v_add_co_u32 v0, s0, s8, v3
	v_add_co_ci_u32_e64 v3, s0, s9, v4, s0
	v_add_co_u32 v0, s0, v0, v1
	v_add_co_ci_u32_e64 v1, s0, v3, v2, s0
	v_add_co_u32 v68, s0, v0, v65
	v_add_co_ci_u32_e64 v69, s0, 0, v1, s0
	s_clause 0x1
	global_load_dwordx4 v[0:3], v[68:69], off
	global_load_dwordx4 v[4:7], v[68:69], off offset:1600
	v_add_co_u32 v8, s0, 0x800, v68
	v_add_co_ci_u32_e64 v9, s0, 0, v69, s0
	v_add_co_u32 v12, s0, 0x1000, v68
	v_add_co_ci_u32_e64 v13, s0, 0, v69, s0
	;; [unrolled: 2-line block ×21, first 2 shown]
	v_add_co_u32 v68, s0, 0xb000, v68
	s_clause 0xd
	global_load_dwordx4 v[8:11], v[8:9], off offset:1152
	global_load_dwordx4 v[12:15], v[12:13], off offset:704
	global_load_dwordx4 v[16:19], v[20:21], off offset:256
	global_load_dwordx4 v[20:23], v[20:21], off offset:1856
	global_load_dwordx4 v[24:27], v[24:25], off offset:1408
	global_load_dwordx4 v[28:31], v[28:29], off offset:960
	global_load_dwordx4 v[32:35], v[32:33], off offset:512
	global_load_dwordx4 v[36:39], v[40:41], off offset:64
	global_load_dwordx4 v[40:43], v[40:41], off offset:1664
	global_load_dwordx4 v[44:47], v[44:45], off offset:1216
	global_load_dwordx4 v[48:51], v[48:49], off offset:768
	global_load_dwordx4 v[52:55], v[56:57], off offset:320
	global_load_dwordx4 v[56:59], v[56:57], off offset:1920
	global_load_dwordx4 v[60:63], v[60:61], off offset:1472
	v_add_co_ci_u32_e64 v69, s0, 0, v69, s0
	s_clause 0xd
	global_load_dwordx4 v[80:83], v[72:73], off offset:1024
	global_load_dwordx4 v[84:87], v[74:75], off offset:576
	;; [unrolled: 1-line block ×14, first 2 shown]
	v_add_nc_u32_e32 v68, 0x64, v64
	v_add_nc_u32_e32 v79, 0xc8, v64
	;; [unrolled: 1-line block ×10, first 2 shown]
	s_waitcnt vmcnt(29)
	ds_write_b128 v65, v[0:3]
	s_waitcnt vmcnt(28)
	ds_write_b128 v65, v[4:7] offset:1600
	s_waitcnt vmcnt(27)
	ds_write_b128 v65, v[8:11] offset:3200
	;; [unrolled: 2-line block ×29, first 2 shown]
.LBB0_13:
	s_or_b32 exec_lo, exec_lo, s1
	v_lshlrev_b32_e32 v65, 4, v64
	s_load_dwordx2 s[2:3], s[2:3], 0x0
	s_waitcnt lgkmcnt(0)
	s_barrier
	buffer_gl0_inv
	v_add_nc_u32_e32 v132, 0, v65
	s_mov_b32 s14, 0x134454ff
	s_mov_b32 s15, 0x3fee6f0e
	;; [unrolled: 1-line block ×4, first 2 shown]
	ds_read_b128 v[12:15], v132 offset:33600
	ds_read_b128 v[20:23], v132 offset:24000
	;; [unrolled: 1-line block ×4, first 2 shown]
	ds_read_b128 v[40:43], v132
	ds_read_b128 v[32:35], v132 offset:9600
	ds_read_b128 v[8:11], v132 offset:25600
	;; [unrolled: 1-line block ×17, first 2 shown]
	s_mov_b32 s4, 0x4755a5e
	s_mov_b32 s5, 0x3fe2cf23
	s_mov_b32 s9, 0xbfe2cf23
	s_mov_b32 s8, s4
	s_mov_b32 s6, 0x372fe950
	s_mov_b32 s7, 0x3fd3c6ef
	s_mov_b32 s18, 0x9b97f4a8
	s_mov_b32 s19, 0x3fe9e377
	v_mul_u32_u24_e32 v69, 10, v64
	s_mov_b32 s0, 0xe8584caa
	s_mov_b32 s1, 0x3febb67a
	;; [unrolled: 1-line block ×3, first 2 shown]
	s_waitcnt lgkmcnt(20)
	v_add_f64 v[80:81], v[20:21], v[12:13]
	v_add_f64 v[110:111], v[22:23], v[14:15]
	s_waitcnt lgkmcnt(18)
	v_add_f64 v[106:107], v[26:27], v[18:19]
	v_add_f64 v[108:109], v[24:25], v[16:17]
	v_add_f64 v[114:115], v[26:27], -v[18:19]
	v_add_f64 v[118:119], v[22:23], -v[14:15]
	;; [unrolled: 1-line block ×3, first 2 shown]
	s_waitcnt lgkmcnt(9)
	v_add_f64 v[122:123], v[86:87], v[82:83]
	v_add_f64 v[130:131], v[88:89], v[84:85]
	v_add_f64 v[137:138], v[24:25], -v[16:17]
	s_waitcnt lgkmcnt(4)
	v_add_f64 v[141:142], v[32:33], v[90:91]
	v_add_f64 v[143:144], v[34:35], v[92:93]
	v_add_f64 v[145:146], v[24:25], -v[20:21]
	v_add_f64 v[147:148], v[16:17], -v[12:13]
	;; [unrolled: 1-line block ×6, first 2 shown]
	v_add_f64 v[112:113], v[40:41], v[32:33]
	v_add_f64 v[116:117], v[42:43], v[34:35]
	v_add_f64 v[124:125], v[88:89], -v[84:85]
	v_add_f64 v[126:127], v[32:33], -v[86:87]
	v_fma_f64 v[80:81], v[80:81], -0.5, v[44:45]
	v_fma_f64 v[110:111], v[110:111], -0.5, v[46:47]
	;; [unrolled: 1-line block ×4, first 2 shown]
	v_add_f64 v[128:129], v[86:87], -v[32:33]
	v_add_f64 v[133:134], v[86:87], -v[82:83]
	;; [unrolled: 1-line block ×10, first 2 shown]
	v_add_f64 v[24:25], v[44:45], v[24:25]
	v_add_f64 v[26:27], v[46:47], v[26:27]
	v_fma_f64 v[44:45], v[122:123], -0.5, v[40:41]
	v_fma_f64 v[40:41], v[141:142], -0.5, v[40:41]
	;; [unrolled: 1-line block ×3, first 2 shown]
	v_add_f64 v[122:123], v[145:146], v[147:148]
	v_fma_f64 v[42:43], v[143:144], -0.5, v[42:43]
	v_add_f64 v[141:142], v[149:150], v[155:156]
	v_fma_f64 v[151:152], v[114:115], s[14:15], v[80:81]
	v_fma_f64 v[80:81], v[114:115], s[16:17], v[80:81]
	;; [unrolled: 1-line block ×8, first 2 shown]
	v_add_f64 v[143:144], v[153:154], v[157:158]
	v_add_f64 v[34:35], v[88:89], -v[34:35]
	v_add_f64 v[149:150], v[84:85], -v[92:93]
	v_add_f64 v[86:87], v[112:113], v[86:87]
	v_add_f64 v[88:89], v[116:117], v[88:89]
	;; [unrolled: 1-line block ×7, first 2 shown]
	v_fma_f64 v[116:117], v[139:140], s[14:15], v[44:45]
	v_add_f64 v[126:127], v[128:129], v[165:166]
	v_fma_f64 v[128:129], v[124:125], s[16:17], v[40:41]
	v_fma_f64 v[40:41], v[124:125], s[14:15], v[40:41]
	;; [unrolled: 1-line block ×13, first 2 shown]
	v_add_f64 v[82:83], v[86:87], v[82:83]
	v_add_f64 v[84:85], v[88:89], v[84:85]
	s_waitcnt lgkmcnt(2)
	v_add_f64 v[151:152], v[94:95], v[4:5]
	v_add_f64 v[12:13], v[20:21], v[12:13]
	;; [unrolled: 1-line block ×5, first 2 shown]
	v_fma_f64 v[88:89], v[124:125], s[4:5], v[116:117]
	v_add_f64 v[153:154], v[96:97], v[6:7]
	v_add_f64 v[167:168], v[10:11], v[2:3]
	v_fma_f64 v[40:41], v[139:140], s[8:9], v[40:41]
	v_fma_f64 v[120:121], v[122:123], s[6:7], v[130:131]
	;; [unrolled: 1-line block ×14, first 2 shown]
	v_add_f64 v[82:83], v[82:83], v[90:91]
	v_add_f64 v[84:85], v[84:85], v[92:93]
	;; [unrolled: 1-line block ×3, first 2 shown]
	ds_read_b128 v[12:15], v132 offset:1600
	v_fma_f64 v[46:47], v[133:134], s[4:5], v[46:47]
	v_add_f64 v[133:134], v[22:23], v[18:19]
	v_fma_f64 v[88:89], v[24:25], s[6:7], v[88:89]
	v_add_f64 v[147:148], v[6:7], v[62:63]
	v_add_f64 v[169:170], v[10:11], -v[2:3]
	v_mul_f64 v[112:113], v[120:121], s[18:19]
	v_mul_f64 v[116:117], v[120:121], s[8:9]
	v_fma_f64 v[120:121], v[32:33], s[8:9], v[130:131]
	v_mul_f64 v[122:123], v[135:136], s[14:15]
	v_mul_f64 v[128:129], v[137:138], s[16:17]
	;; [unrolled: 1-line block ×3, first 2 shown]
	v_fma_f64 v[42:43], v[32:33], s[4:5], v[42:43]
	v_mul_f64 v[139:140], v[106:107], s[6:7]
	v_mul_f64 v[124:125], v[80:81], s[18:19]
	v_mul_f64 v[90:91], v[86:87], s[18:19]
	v_fma_f64 v[114:115], v[26:27], s[6:7], v[114:115]
	v_add_f64 v[171:172], v[6:7], -v[62:63]
	v_fma_f64 v[24:25], v[24:25], s[6:7], v[44:45]
	v_add_f64 v[173:174], v[4:5], -v[8:9]
	v_add_f64 v[175:176], v[8:9], -v[0:1]
	v_add_f64 v[16:17], v[82:83], v[92:93]
	v_add_f64 v[44:45], v[82:83], -v[92:93]
	v_fma_f64 v[26:27], v[26:27], s[6:7], v[46:47]
	v_add_f64 v[18:19], v[84:85], v[133:134]
	v_add_f64 v[46:47], v[84:85], -v[133:134]
	v_add_f64 v[177:178], v[60:61], -v[0:1]
	v_fma_f64 v[147:148], v[147:148], -0.5, v[96:97]
	v_fma_f64 v[112:113], v[110:111], s[4:5], v[112:113]
	v_fma_f64 v[110:111], v[110:111], s[18:19], v[116:117]
	;; [unrolled: 1-line block ×7, first 2 shown]
	v_fma_f64 v[130:131], v[106:107], s[14:15], -v[130:131]
	v_fma_f64 v[128:129], v[20:21], s[6:7], v[42:43]
	v_fma_f64 v[135:136], v[108:109], s[16:17], -v[139:140]
	v_fma_f64 v[137:138], v[86:87], s[4:5], -v[124:125]
	;; [unrolled: 1-line block ×3, first 2 shown]
	ds_read_b128 v[20:23], v132 offset:20800
	v_add_f64 v[151:152], v[151:152], v[8:9]
	v_add_f64 v[153:154], v[153:154], v[10:11]
	v_fma_f64 v[96:97], v[167:168], -0.5, v[96:97]
	v_add_f64 v[167:168], v[4:5], -v[60:61]
	v_lshl_add_u32 v69, v69, 4, 0
	ds_read_b128 v[32:35], v132 offset:3200
	ds_read_b128 v[40:43], v132 offset:12800
	v_add_f64 v[173:174], v[173:174], v[177:178]
	v_fma_f64 v[177:178], v[175:176], s[14:15], v[147:148]
	v_add_f64 v[80:81], v[88:89], v[112:113]
	v_add_f64 v[82:83], v[114:115], v[110:111]
	v_add_f64 v[86:87], v[114:115], -v[110:111]
	v_add_f64 v[84:85], v[88:89], -v[112:113]
	v_add_f64 v[88:89], v[116:117], v[120:121]
	v_add_f64 v[90:91], v[118:119], v[122:123]
	v_add_f64 v[108:109], v[118:119], -v[122:123]
	v_add_f64 v[110:111], v[126:127], v[130:131]
	v_add_f64 v[114:115], v[126:127], -v[130:131]
	ds_read_b128 v[122:125], v132 offset:40000
	s_waitcnt lgkmcnt(4)
	v_add_f64 v[141:142], v[12:13], v[98:99]
	v_add_f64 v[143:144], v[14:15], v[100:101]
	;; [unrolled: 1-line block ×3, first 2 shown]
	v_add_f64 v[106:107], v[116:117], -v[120:121]
	v_add_f64 v[112:113], v[128:129], v[135:136]
	v_add_f64 v[116:117], v[128:129], -v[135:136]
	ds_read_b128 v[133:136], v132 offset:22400
	s_waitcnt lgkmcnt(4)
	v_add_f64 v[155:156], v[98:99], -v[20:21]
	v_add_f64 v[157:158], v[20:21], -v[98:99]
	v_add_f64 v[159:160], v[22:23], v[104:105]
	v_add_f64 v[161:162], v[20:21], -v[102:103]
	v_add_f64 v[8:9], v[8:9], -v[4:5]
	;; [unrolled: 1-line block ×4, first 2 shown]
	v_fma_f64 v[147:148], v[175:176], s[16:17], v[147:148]
	v_fma_f64 v[177:178], v[167:168], s[8:9], v[177:178]
	v_add_f64 v[118:119], v[24:25], v[137:138]
	v_add_f64 v[120:121], v[26:27], v[139:140]
	v_add_f64 v[126:127], v[24:25], -v[137:138]
	s_waitcnt lgkmcnt(1)
	v_add_f64 v[165:166], v[100:101], v[124:125]
	v_add_f64 v[179:180], v[124:125], -v[104:105]
	v_add_f64 v[128:129], v[26:27], -v[139:140]
	v_add_f64 v[92:93], v[141:142], v[20:21]
	v_add_f64 v[141:142], v[143:144], v[22:23]
	;; [unrolled: 1-line block ×4, first 2 shown]
	v_fma_f64 v[130:131], v[130:131], -0.5, v[94:95]
	v_fma_f64 v[94:95], v[149:150], -0.5, v[94:95]
	v_add_f64 v[22:23], v[22:23], -v[100:101]
	v_add_f64 v[100:101], v[100:101], -v[124:125]
	;; [unrolled: 1-line block ×3, first 2 shown]
	v_fma_f64 v[159:160], v[159:160], -0.5, v[14:15]
	v_add_f64 v[98:99], v[98:99], -v[122:123]
	ds_read_b128 v[137:140], v132 offset:32000
	ds_read_b128 v[24:27], v132 offset:41600
	s_waitcnt lgkmcnt(0)
	s_barrier
	v_fma_f64 v[147:148], v[167:168], s[4:5], v[147:148]
	buffer_gl0_inv
	ds_write_b128 v69, v[16:19]
	ds_write_b128 v69, v[44:47] offset:80
	ds_write_b128 v69, v[80:83] offset:16
	;; [unrolled: 1-line block ×4, first 2 shown]
	v_fma_f64 v[14:15], v[165:166], -0.5, v[14:15]
	v_add_f64 v[165:166], v[2:3], -v[62:63]
	ds_write_b128 v69, v[110:113] offset:48
	v_add_f64 v[92:93], v[92:93], v[102:103]
	v_add_f64 v[141:142], v[141:142], v[104:105]
	v_fma_f64 v[143:144], v[143:144], -0.5, v[12:13]
	v_fma_f64 v[12:13], v[20:21], -0.5, v[12:13]
	v_add_f64 v[20:21], v[6:7], -v[10:11]
	v_add_f64 v[6:7], v[10:11], -v[6:7]
	;; [unrolled: 1-line block ×3, first 2 shown]
	v_fma_f64 v[4:5], v[171:172], s[14:15], v[130:131]
	v_fma_f64 v[181:182], v[169:170], s[16:17], v[94:95]
	;; [unrolled: 1-line block ×3, first 2 shown]
	v_add_f64 v[102:103], v[102:103], -v[122:123]
	v_add_f64 v[104:105], v[104:105], -v[124:125]
	v_add_f64 v[0:1], v[151:152], v[0:1]
	v_add_f64 v[149:150], v[155:156], v[149:150]
	;; [unrolled: 1-line block ×3, first 2 shown]
	ds_write_b128 v69, v[118:121] offset:64
	ds_write_b128 v69, v[106:109] offset:112
	;; [unrolled: 1-line block ×3, first 2 shown]
	v_add_f64 v[108:109], v[54:55], v[38:39]
	v_add_f64 v[86:87], v[32:33], v[40:41]
	v_add_f64 v[106:107], v[34:35], v[42:43]
	ds_write_b128 v69, v[126:129] offset:144
	v_add_f64 v[112:113], v[50:51], -v[30:31]
	v_add_f64 v[18:19], v[92:93], v[122:123]
	v_add_f64 v[80:81], v[141:142], v[124:125]
	v_add_f64 v[120:121], v[54:55], -v[38:39]
	v_add_f64 v[122:123], v[52:53], -v[36:37]
	v_add_f64 v[126:127], v[58:59], v[50:51]
	v_add_f64 v[6:7], v[6:7], v[165:166]
	;; [unrolled: 1-line block ×3, first 2 shown]
	v_add_f64 v[10:11], v[62:63], -v[2:3]
	v_fma_f64 v[165:166], v[167:168], s[16:17], v[96:97]
	v_fma_f64 v[4:5], v[169:170], s[4:5], v[4:5]
	v_fma_f64 v[181:182], v[171:172], s[4:5], v[181:182]
	v_fma_f64 v[94:95], v[171:172], s[8:9], v[94:95]
	v_add_f64 v[2:3], v[153:154], v[2:3]
	v_add_f64 v[102:103], v[157:158], v[102:103]
	;; [unrolled: 1-line block ×3, first 2 shown]
	v_fma_f64 v[153:154], v[98:99], s[16:17], v[159:160]
	v_add_f64 v[0:1], v[0:1], v[60:61]
	v_fma_f64 v[96:97], v[167:168], s[14:15], v[96:97]
	v_fma_f64 v[114:115], v[171:172], s[16:17], v[130:131]
	v_add_f64 v[130:131], v[48:49], -v[28:29]
	v_add_f64 v[110:111], v[42:43], -v[135:136]
	;; [unrolled: 1-line block ×4, first 2 shown]
	v_add_f64 v[124:125], v[40:41], v[24:25]
	v_add_f64 v[42:43], v[42:43], v[26:27]
	v_add_f64 v[128:129], v[48:49], -v[52:53]
	v_add_f64 v[141:142], v[36:37], -v[28:29]
	v_mul_i32_i24_e32 v69, 10, v68
	s_mov_b32 s20, s0
	v_add_f64 v[151:152], v[20:21], v[10:11]
	v_fma_f64 v[10:11], v[175:176], s[8:9], v[165:166]
	v_fma_f64 v[4:5], v[173:174], s[6:7], v[4:5]
	;; [unrolled: 1-line block ×11, first 2 shown]
	v_add_f64 v[2:3], v[2:3], v[62:63]
	v_fma_f64 v[153:154], v[161:162], s[8:9], v[153:154]
	v_add_f64 v[44:45], v[18:19], v[0:1]
	v_add_f64 v[0:1], v[18:19], -v[0:1]
	v_fma_f64 v[114:115], v[169:170], s[8:9], v[114:115]
	v_fma_f64 v[10:11], v[151:152], s[6:7], v[10:11]
	v_mul_f64 v[163:164], v[4:5], s[18:19]
	v_mul_f64 v[4:5], v[4:5], s[8:9]
	v_fma_f64 v[20:21], v[145:146], s[4:5], v[20:21]
	v_mul_f64 v[104:105], v[165:166], s[14:15]
	v_mul_f64 v[157:158], v[177:178], s[16:17]
	v_fma_f64 v[94:95], v[100:101], s[4:5], v[94:95]
	v_mul_f64 v[16:17], v[6:7], s[6:7]
	v_fma_f64 v[12:13], v[100:101], s[8:9], v[12:13]
	v_fma_f64 v[147:148], v[98:99], s[8:9], v[147:148]
	v_mul_f64 v[179:180], v[8:9], s[6:7]
	v_fma_f64 v[14:15], v[98:99], s[4:5], v[14:15]
	v_add_f64 v[46:47], v[80:81], v[2:3]
	v_add_f64 v[2:3], v[80:81], -v[2:3]
	v_add_f64 v[80:81], v[52:53], v[36:37]
	v_fma_f64 v[100:101], v[100:101], s[16:17], v[143:144]
	v_add_f64 v[143:144], v[38:39], -v[30:31]
	v_fma_f64 v[98:99], v[98:99], s[14:15], v[159:160]
	v_fma_f64 v[114:115], v[173:174], s[6:7], v[114:115]
	;; [unrolled: 1-line block ×8, first 2 shown]
	v_fma_f64 v[84:85], v[8:9], s[16:17], -v[16:17]
	v_fma_f64 v[102:103], v[102:103], s[6:7], v[12:13]
	v_fma_f64 v[90:91], v[165:166], s[6:7], v[157:158]
	;; [unrolled: 1-line block ×3, first 2 shown]
	v_fma_f64 v[104:105], v[6:7], s[14:15], -v[179:180]
	v_fma_f64 v[22:23], v[22:23], s[6:7], v[14:15]
	v_add_f64 v[157:158], v[24:25], -v[137:138]
	v_fma_f64 v[80:81], v[80:81], -0.5, v[56:57]
	v_fma_f64 v[100:101], v[145:146], s[8:9], v[100:101]
	v_fma_f64 v[98:99], v[161:162], s[4:5], v[98:99]
	v_add_f64 v[60:61], v[4:5], v[82:83]
	v_add_f64 v[4:5], v[4:5], -v[82:83]
	v_add_f64 v[82:83], v[50:51], v[30:31]
	v_add_f64 v[12:13], v[92:93], v[88:89]
	v_add_f64 v[8:9], v[92:93], -v[88:89]
	v_add_f64 v[88:89], v[48:49], v[28:29]
	;; [unrolled: 3-line block ×3, first 2 shown]
	v_add_f64 v[10:11], v[94:95], -v[90:91]
	v_add_f64 v[16:17], v[102:103], v[104:105]
	v_add_f64 v[18:19], v[22:23], v[84:85]
	v_add_f64 v[20:21], v[102:103], -v[104:105]
	v_add_f64 v[22:23], v[22:23], -v[84:85]
	v_add_f64 v[84:85], v[86:87], v[133:134]
	v_add_f64 v[86:87], v[106:107], v[135:136]
	;; [unrolled: 1-line block ×3, first 2 shown]
	v_add_f64 v[92:93], v[135:136], -v[139:140]
	v_add_f64 v[94:95], v[40:41], -v[133:134]
	;; [unrolled: 1-line block ×3, first 2 shown]
	v_add_f64 v[104:105], v[135:136], v[139:140]
	v_add_f64 v[106:107], v[133:134], -v[137:138]
	v_fma_f64 v[133:134], v[112:113], s[14:15], v[80:81]
	v_add_f64 v[135:136], v[54:55], -v[50:51]
	v_fma_f64 v[82:83], v[82:83], -0.5, v[58:59]
	v_fma_f64 v[58:59], v[108:109], -0.5, v[58:59]
	v_add_f64 v[108:109], v[28:29], -v[36:37]
	v_fma_f64 v[88:89], v[88:89], -0.5, v[56:57]
	v_add_f64 v[56:57], v[56:57], v[48:49]
	v_add_f64 v[48:49], v[52:53], -v[48:49]
	v_add_f64 v[50:51], v[50:51], -v[54:55]
	v_fma_f64 v[80:81], v[112:113], s[16:17], v[80:81]
	v_add_f64 v[40:41], v[40:41], -v[24:25]
	v_fma_f64 v[98:99], v[155:156], s[6:7], v[98:99]
	v_add_f64 v[84:85], v[84:85], v[137:138]
	v_add_f64 v[86:87], v[86:87], v[139:140]
	v_fma_f64 v[90:91], v[90:91], -0.5, v[32:33]
	v_fma_f64 v[32:33], v[124:125], -0.5, v[32:33]
	v_add_f64 v[124:125], v[26:27], -v[139:140]
	v_fma_f64 v[104:105], v[104:105], -0.5, v[34:35]
	v_fma_f64 v[34:35], v[42:43], -0.5, v[34:35]
	v_fma_f64 v[147:148], v[122:123], s[14:15], v[82:83]
	v_fma_f64 v[82:83], v[122:123], s[16:17], v[82:83]
	v_add_f64 v[108:109], v[128:129], v[108:109]
	v_fma_f64 v[153:154], v[120:121], s[16:17], v[88:89]
	v_add_f64 v[52:53], v[56:57], v[52:53]
	;; [unrolled: 2-line block ×3, first 2 shown]
	v_fma_f64 v[54:55], v[120:121], s[14:15], v[88:89]
	v_add_f64 v[88:89], v[30:31], -v[38:39]
	v_fma_f64 v[126:127], v[130:131], s[14:15], v[58:59]
	v_fma_f64 v[58:59], v[130:131], s[16:17], v[58:59]
	;; [unrolled: 1-line block ×3, first 2 shown]
	v_add_f64 v[48:49], v[48:49], v[141:142]
	v_add_f64 v[133:134], v[135:136], v[143:144]
	;; [unrolled: 1-line block ×4, first 2 shown]
	v_fma_f64 v[135:136], v[130:131], s[8:9], v[147:148]
	v_fma_f64 v[82:83], v[130:131], s[4:5], v[82:83]
	v_fma_f64 v[130:131], v[92:93], s[16:17], v[32:33]
	v_fma_f64 v[141:142], v[112:113], s[4:5], v[153:154]
	v_add_f64 v[36:37], v[52:53], v[36:37]
	v_fma_f64 v[52:53], v[120:121], s[8:9], v[80:81]
	v_fma_f64 v[42:43], v[151:152], s[6:7], v[56:57]
	;; [unrolled: 1-line block ×3, first 2 shown]
	v_add_f64 v[50:51], v[50:51], v[88:89]
	v_fma_f64 v[80:81], v[122:123], s[4:5], v[126:127]
	v_add_f64 v[56:57], v[137:138], -v[24:25]
	v_add_f64 v[112:113], v[139:140], -v[26:27]
	v_add_f64 v[38:39], v[96:97], v[38:39]
	v_fma_f64 v[58:59], v[122:123], s[8:9], v[58:59]
	v_fma_f64 v[88:89], v[108:109], s[6:7], v[128:129]
	;; [unrolled: 1-line block ×7, first 2 shown]
	v_mul_f64 v[122:123], v[114:115], s[18:19]
	v_fma_f64 v[126:127], v[133:134], s[6:7], v[135:136]
	v_fma_f64 v[135:136], v[106:107], s[14:15], v[34:35]
	v_fma_f64 v[34:35], v[106:107], s[16:17], v[34:35]
	v_fma_f64 v[128:129], v[48:49], s[6:7], v[141:142]
	v_add_f64 v[36:37], v[36:37], v[28:29]
	v_fma_f64 v[52:53], v[108:109], s[6:7], v[52:53]
	v_mul_f64 v[137:138], v[42:43], s[18:19]
	v_fma_f64 v[48:49], v[48:49], s[6:7], v[54:55]
	v_fma_f64 v[54:55], v[133:134], s[6:7], v[82:83]
	v_add_f64 v[82:83], v[94:95], v[157:158]
	v_fma_f64 v[94:95], v[40:41], s[14:15], v[104:105]
	v_fma_f64 v[80:81], v[50:51], s[6:7], v[80:81]
	v_add_f64 v[104:105], v[110:111], v[124:125]
	v_fma_f64 v[50:51], v[50:51], s[6:7], v[58:59]
	v_mul_f64 v[58:59], v[88:89], s[18:19]
	v_mul_f64 v[88:89], v[88:89], s[8:9]
	v_fma_f64 v[100:101], v[92:93], s[4:5], v[100:101]
	v_fma_f64 v[108:109], v[106:107], s[8:9], v[120:121]
	v_add_f64 v[56:57], v[102:103], v[56:57]
	v_add_f64 v[102:103], v[116:117], v[112:113]
	v_fma_f64 v[116:117], v[118:119], s[4:5], v[130:131]
	v_fma_f64 v[32:33], v[118:119], s[8:9], v[32:33]
	v_mul_f64 v[110:111], v[126:127], s[14:15]
	v_fma_f64 v[120:121], v[40:41], s[8:9], v[135:136]
	v_fma_f64 v[34:35], v[40:41], s[4:5], v[34:35]
	v_mul_f64 v[112:113], v[128:129], s[16:17]
	v_fma_f64 v[90:91], v[92:93], s[8:9], v[90:91]
	v_fma_f64 v[42:43], v[42:43], s[4:5], -v[122:123]
	v_fma_f64 v[114:115], v[114:115], s[8:9], -v[137:138]
	v_mul_f64 v[40:41], v[48:49], s[6:7]
	v_mul_f64 v[118:119], v[54:55], s[6:7]
	v_add_f64 v[38:39], v[38:39], v[30:31]
	v_fma_f64 v[92:93], v[106:107], s[4:5], v[94:95]
	v_mul_f64 v[94:95], v[52:53], s[18:19]
	v_mul_f64 v[106:107], v[80:81], s[18:19]
	v_lshl_add_u32 v133, v69, 4, 0
	v_fma_f64 v[58:59], v[50:51], s[4:5], v[58:59]
	v_fma_f64 v[50:51], v[50:51], s[18:19], v[88:89]
	;; [unrolled: 1-line block ×4, first 2 shown]
	ds_write_b128 v133, v[44:47]
	ds_write_b128 v133, v[60:63] offset:16
	ds_write_b128 v133, v[12:15] offset:32
	;; [unrolled: 1-line block ×3, first 2 shown]
	v_mul_i32_i24_e32 v12, 10, v79
	v_lshl_add_u32 v136, v78, 4, 0
	v_fma_f64 v[108:109], v[128:129], s[6:7], v[110:111]
	v_mad_i32_i24 v69, 0xffffff70, v68, v133
	v_lshl_add_u32 v135, v72, 4, 0
	v_fma_f64 v[110:111], v[126:127], s[6:7], v[112:113]
	v_fma_f64 v[112:113], v[56:57], s[6:7], v[116:117]
	;; [unrolled: 1-line block ×4, first 2 shown]
	v_fma_f64 v[54:55], v[54:55], s[14:15], -v[40:41]
	v_fma_f64 v[102:103], v[102:103], s[6:7], v[34:35]
	v_fma_f64 v[118:119], v[48:49], s[16:17], -v[118:119]
	v_fma_f64 v[90:91], v[82:83], s[6:7], v[90:91]
	v_fma_f64 v[104:105], v[104:105], s[6:7], v[92:93]
	v_fma_f64 v[122:123], v[80:81], s[4:5], -v[94:95]
	v_fma_f64 v[52:53], v[52:53], s[8:9], -v[106:107]
	v_add_f64 v[24:25], v[96:97], v[42:43]
	v_add_f64 v[26:27], v[98:99], v[114:115]
	;; [unrolled: 1-line block ×3, first 2 shown]
	v_add_f64 v[36:37], v[84:85], -v[36:37]
	v_add_f64 v[40:41], v[88:89], v[58:59]
	v_add_f64 v[48:49], v[88:89], -v[58:59]
	v_add_f64 v[28:29], v[96:97], -v[42:43]
	;; [unrolled: 1-line block ×3, first 2 shown]
	v_add_f64 v[34:35], v[86:87], v[38:39]
	v_add_f64 v[38:39], v[86:87], -v[38:39]
	v_add_f64 v[42:43], v[100:101], v[50:51]
	v_add_f64 v[50:51], v[100:101], -v[50:51]
	v_add_f64 v[56:57], v[112:113], v[108:109]
	v_add_f64 v[58:59], v[116:117], v[110:111]
	v_add_f64 v[80:81], v[112:113], -v[108:109]
	v_add_f64 v[84:85], v[120:121], v[54:55]
	v_add_f64 v[92:93], v[120:121], -v[54:55]
	v_and_b32_e32 v55, 0xff, v64
	v_add_f64 v[86:87], v[102:103], v[118:119]
	v_add_f64 v[94:95], v[102:103], -v[118:119]
	v_add_f64 v[96:97], v[90:91], v[122:123]
	v_add_f64 v[98:99], v[104:105], v[52:53]
	v_mul_lo_u16 v13, 0xcd, v55
	v_add_f64 v[100:101], v[90:91], -v[122:123]
	v_add_f64 v[102:103], v[104:105], -v[52:53]
	;; [unrolled: 1-line block ×3, first 2 shown]
	ds_write_b128 v133, v[24:27] offset:64
	v_lshrrev_b16 v89, 11, v13
	ds_write_b128 v133, v[0:3] offset:80
	ds_write_b128 v133, v[4:7] offset:96
	v_and_b32_e32 v54, 0xff, v68
	v_lshl_add_u32 v134, v12, 4, 0
	v_mov_b32_e32 v1, 5
	v_mul_lo_u16 v0, v89, 10
	v_mov_b32_e32 v2, 0xcccd
	ds_write_b128 v133, v[8:11] offset:112
	ds_write_b128 v133, v[20:23] offset:128
	;; [unrolled: 1-line block ×3, first 2 shown]
	ds_write_b128 v134, v[32:35]
	ds_write_b128 v134, v[40:43] offset:16
	ds_write_b128 v134, v[56:59] offset:32
	;; [unrolled: 1-line block ×4, first 2 shown]
	v_sub_nc_u16 v91, v64, v0
	v_mul_lo_u16 v0, 0xcd, v54
	v_mul_u32_u24_sdwa v4, v79, v2 dst_sel:DWORD dst_unused:UNUSED_PAD src0_sel:WORD_0 src1_sel:DWORD
	ds_write_b128 v134, v[36:39] offset:80
	ds_write_b128 v134, v[48:51] offset:96
	;; [unrolled: 1-line block ×5, first 2 shown]
	v_lshrrev_b16 v85, 11, v0
	v_lshlrev_b32_sdwa v0, v1, v91 dst_sel:DWORD dst_unused:UNUSED_PAD src0_sel:DWORD src1_sel:BYTE_0
	s_waitcnt lgkmcnt(0)
	s_barrier
	buffer_gl0_inv
	v_mul_lo_u16 v3, v85, 10
	s_clause 0x1
	global_load_dwordx4 v[12:15], v0, s[12:13]
	global_load_dwordx4 v[16:19], v0, s[12:13] offset:16
	v_lshrrev_b32_e32 v84, 19, v4
	v_mul_u32_u24_sdwa v4, v78, v2 dst_sel:DWORD dst_unused:UNUSED_PAD src0_sel:WORD_0 src1_sel:DWORD
	v_sub_nc_u16 v90, v68, v3
	v_mul_lo_u16 v3, v84, 10
	v_lshrrev_b32_e32 v80, 19, v4
	v_lshlrev_b32_sdwa v0, v1, v90 dst_sel:DWORD dst_unused:UNUSED_PAD src0_sel:DWORD src1_sel:BYTE_0
	v_mul_u32_u24_sdwa v4, v77, v2 dst_sel:DWORD dst_unused:UNUSED_PAD src0_sel:WORD_0 src1_sel:DWORD
	v_sub_nc_u16 v88, v79, v3
	v_mul_lo_u16 v3, v80, 10
	s_clause 0x1
	global_load_dwordx4 v[20:23], v0, s[12:13]
	global_load_dwordx4 v[24:27], v0, s[12:13] offset:16
	v_lshrrev_b32_e32 v63, 19, v4
	v_lshlrev_b32_sdwa v0, v1, v88 dst_sel:DWORD dst_unused:UNUSED_PAD src0_sel:DWORD src1_sel:WORD_0
	v_sub_nc_u16 v86, v78, v3
	v_mul_u32_u24_sdwa v3, v76, v2 dst_sel:DWORD dst_unused:UNUSED_PAD src0_sel:WORD_0 src1_sel:DWORD
	v_mul_u32_u24_e32 v80, 0x1e0, v80
	v_mul_lo_u16 v4, v63, 10
	s_clause 0x1
	global_load_dwordx4 v[28:31], v0, s[12:13]
	global_load_dwordx4 v[32:35], v0, s[12:13] offset:16
	v_lshrrev_b32_e32 v81, 19, v3
	v_lshlrev_b32_sdwa v0, v1, v86 dst_sel:DWORD dst_unused:UNUSED_PAD src0_sel:DWORD src1_sel:WORD_0
	v_sub_nc_u16 v83, v77, v4
	v_mul_u32_u24_sdwa v3, v75, v2 dst_sel:DWORD dst_unused:UNUSED_PAD src0_sel:WORD_0 src1_sel:DWORD
	v_mul_u32_u24_e32 v63, 0x1e0, v63
	v_mul_lo_u16 v4, v81, 10
	s_clause 0x1
	global_load_dwordx4 v[36:39], v0, s[12:13]
	global_load_dwordx4 v[40:43], v0, s[12:13] offset:16
	v_lshlrev_b32_sdwa v0, v1, v83 dst_sel:DWORD dst_unused:UNUSED_PAD src0_sel:DWORD src1_sel:WORD_0
	v_lshrrev_b32_e32 v60, 19, v3
	v_sub_nc_u16 v87, v76, v4
	s_clause 0x1
	global_load_dwordx4 v[48:51], v0, s[12:13]
	global_load_dwordx4 v[92:95], v0, s[12:13] offset:16
	v_lshlrev_b32_sdwa v4, v1, v87 dst_sel:DWORD dst_unused:UNUSED_PAD src0_sel:DWORD src1_sel:WORD_0
	v_mul_lo_u16 v3, v60, 10
	v_mul_u32_u24_sdwa v0, v74, v2 dst_sel:DWORD dst_unused:UNUSED_PAD src0_sel:WORD_0 src1_sel:DWORD
	global_load_dwordx4 v[96:99], v4, s[12:13]
	v_sub_nc_u16 v61, v75, v3
	v_lshrrev_b32_e32 v62, 19, v0
	v_mul_u32_u24_sdwa v0, v73, v2 dst_sel:DWORD dst_unused:UNUSED_PAD src0_sel:WORD_0 src1_sel:DWORD
	v_lshlrev_b32_sdwa v3, v1, v61 dst_sel:DWORD dst_unused:UNUSED_PAD src0_sel:DWORD src1_sel:WORD_0
	s_clause 0x1
	global_load_dwordx4 v[100:103], v4, s[12:13] offset:16
	global_load_dwordx4 v[104:107], v3, s[12:13]
	v_lshrrev_b32_e32 v56, 19, v0
	v_mul_u32_u24_sdwa v0, v72, v2 dst_sel:DWORD dst_unused:UNUSED_PAD src0_sel:WORD_0 src1_sel:DWORD
	global_load_dwordx4 v[108:111], v3, s[12:13] offset:16
	v_mul_lo_u16 v4, v62, 10
	v_mul_lo_u16 v2, v56, 10
	v_lshrrev_b32_e32 v57, 19, v0
	v_sub_nc_u16 v82, v74, v4
	v_sub_nc_u16 v59, v73, v2
	v_mul_lo_u16 v0, v57, 10
	v_lshlrev_b32_sdwa v3, v1, v82 dst_sel:DWORD dst_unused:UNUSED_PAD src0_sel:DWORD src1_sel:WORD_0
	v_lshlrev_b32_sdwa v2, v1, v59 dst_sel:DWORD dst_unused:UNUSED_PAD src0_sel:DWORD src1_sel:WORD_0
	v_sub_nc_u16 v58, v72, v0
	s_clause 0x3
	global_load_dwordx4 v[112:115], v3, s[12:13]
	global_load_dwordx4 v[116:119], v3, s[12:13] offset:16
	global_load_dwordx4 v[120:123], v2, s[12:13]
	global_load_dwordx4 v[8:11], v2, s[12:13] offset:16
	v_lshlrev_b32_sdwa v0, v1, v58 dst_sel:DWORD dst_unused:UNUSED_PAD src0_sel:DWORD src1_sel:WORD_0
	s_clause 0x1
	global_load_dwordx4 v[124:127], v0, s[12:13]
	global_load_dwordx4 v[4:7], v0, s[12:13] offset:16
	ds_read_b128 v[44:47], v132 offset:16000
	ds_read_b128 v[128:131], v132 offset:32000
	ds_read_b128 v[137:140], v132 offset:17600
	ds_read_b128 v[141:144], v132 offset:33600
	ds_read_b128 v[145:148], v132 offset:19200
	ds_read_b128 v[0:3], v136
	ds_read_b128 v[149:152], v132 offset:35200
	ds_read_b128 v[157:160], v132 offset:36800
	;; [unrolled: 1-line block ×3, first 2 shown]
	s_waitcnt vmcnt(19) lgkmcnt(8)
	v_mul_f64 v[52:53], v[46:47], v[14:15]
	v_mul_f64 v[14:15], v[44:45], v[14:15]
	s_waitcnt vmcnt(18) lgkmcnt(7)
	v_mul_f64 v[161:162], v[130:131], v[18:19]
	v_mul_f64 v[18:19], v[128:129], v[18:19]
	s_waitcnt vmcnt(17) lgkmcnt(6)
	v_mul_f64 v[165:166], v[139:140], v[22:23]
	s_waitcnt vmcnt(16) lgkmcnt(5)
	v_mul_f64 v[167:168], v[143:144], v[26:27]
	v_mul_f64 v[26:27], v[141:142], v[26:27]
	;; [unrolled: 1-line block ×3, first 2 shown]
	v_fma_f64 v[169:170], v[44:45], v[12:13], -v[52:53]
	s_waitcnt vmcnt(15) lgkmcnt(4)
	v_mul_f64 v[44:45], v[147:148], v[30:31]
	v_mul_f64 v[30:31], v[145:146], v[30:31]
	v_fma_f64 v[171:172], v[46:47], v[12:13], v[14:15]
	ds_read_b128 v[12:15], v132 offset:22400
	v_fma_f64 v[173:174], v[128:129], v[16:17], -v[161:162]
	ds_read_b128 v[161:164], v132 offset:38400
	s_waitcnt vmcnt(14) lgkmcnt(4)
	v_mul_f64 v[46:47], v[151:152], v[34:35]
	v_mul_f64 v[34:35], v[149:150], v[34:35]
	v_fma_f64 v[175:176], v[130:131], v[16:17], v[18:19]
	ds_read_b128 v[16:19], v132 offset:24000
	ds_read_b128 v[128:131], v132 offset:25600
	s_waitcnt vmcnt(13) lgkmcnt(4)
	v_mul_f64 v[52:53], v[155:156], v[38:39]
	v_mul_f64 v[179:180], v[153:154], v[38:39]
	v_fma_f64 v[165:166], v[137:138], v[20:21], -v[165:166]
	v_fma_f64 v[167:168], v[141:142], v[24:25], -v[167:168]
	v_fma_f64 v[181:182], v[143:144], v[24:25], v[26:27]
	s_waitcnt vmcnt(12)
	v_mul_f64 v[24:25], v[159:160], v[42:43]
	v_mul_f64 v[26:27], v[157:158], v[42:43]
	v_fma_f64 v[177:178], v[139:140], v[20:21], v[22:23]
	ds_read_b128 v[20:23], v132 offset:40000
	ds_read_b128 v[137:140], v132 offset:41600
	;; [unrolled: 1-line block ×3, first 2 shown]
	v_fma_f64 v[183:184], v[145:146], v[28:29], -v[44:45]
	s_waitcnt vmcnt(11) lgkmcnt(6)
	v_mul_f64 v[42:43], v[14:15], v[50:51]
	v_fma_f64 v[185:186], v[147:148], v[28:29], v[30:31]
	v_mul_f64 v[28:29], v[12:13], v[50:51]
	s_waitcnt vmcnt(10) lgkmcnt(5)
	v_mul_f64 v[30:31], v[163:164], v[94:95]
	v_mul_f64 v[94:95], v[161:162], v[94:95]
	v_fma_f64 v[187:188], v[149:150], v[32:33], -v[46:47]
	v_fma_f64 v[189:190], v[151:152], v[32:33], v[34:35]
	ds_read_b128 v[149:152], v132 offset:28800
	s_waitcnt vmcnt(9) lgkmcnt(5)
	v_mul_f64 v[32:33], v[18:19], v[98:99]
	v_mul_f64 v[98:99], v[16:17], v[98:99]
	v_fma_f64 v[38:39], v[153:154], v[36:37], -v[52:53]
	v_fma_f64 v[44:45], v[155:156], v[36:37], v[179:180]
	ds_read_b128 v[145:148], v132 offset:43200
	ds_read_b128 v[153:156], v132 offset:44800
	s_waitcnt vmcnt(7) lgkmcnt(6)
	v_mul_f64 v[179:180], v[130:131], v[106:107]
	v_fma_f64 v[46:47], v[157:158], v[40:41], -v[24:25]
	s_waitcnt lgkmcnt(5)
	v_mul_f64 v[36:37], v[22:23], v[102:103]
	v_mul_f64 v[102:103], v[20:21], v[102:103]
	;; [unrolled: 1-line block ×3, first 2 shown]
	v_fma_f64 v[52:53], v[159:160], v[40:41], v[26:27]
	v_fma_f64 v[42:43], v[12:13], v[48:49], -v[42:43]
	s_waitcnt vmcnt(6) lgkmcnt(4)
	v_mul_f64 v[12:13], v[139:140], v[110:111]
	v_fma_f64 v[50:51], v[14:15], v[48:49], v[28:29]
	v_mul_f64 v[14:15], v[137:138], v[110:111]
	v_fma_f64 v[28:29], v[161:162], v[92:93], -v[30:31]
	v_fma_f64 v[34:35], v[163:164], v[92:93], v[94:95]
	ds_read_b128 v[92:95], v132 offset:30400
	v_add_f64 v[160:161], v[177:178], -v[181:182]
	v_fma_f64 v[40:41], v[16:17], v[96:97], -v[32:33]
	v_fma_f64 v[48:49], v[18:19], v[96:97], v[98:99]
	ds_read_b128 v[96:99], v132 offset:46400
	s_waitcnt vmcnt(5) lgkmcnt(5)
	v_mul_f64 v[16:17], v[143:144], v[114:115]
	v_mul_f64 v[18:19], v[141:142], v[114:115]
	s_waitcnt vmcnt(4) lgkmcnt(3)
	v_mul_f64 v[106:107], v[147:148], v[118:119]
	v_mul_f64 v[110:111], v[145:146], v[118:119]
	s_waitcnt vmcnt(3)
	v_mul_f64 v[114:115], v[149:150], v[122:123]
	v_fma_f64 v[32:33], v[20:21], v[100:101], -v[36:37]
	v_fma_f64 v[36:37], v[22:23], v[100:101], v[102:103]
	v_fma_f64 v[30:31], v[130:131], v[104:105], v[24:25]
	s_waitcnt vmcnt(2) lgkmcnt(2)
	v_mul_f64 v[118:119], v[155:156], v[10:11]
	ds_read_b128 v[100:103], v132
	v_fma_f64 v[26:27], v[128:129], v[104:105], -v[179:180]
	v_mul_f64 v[104:105], v[151:152], v[122:123]
	v_fma_f64 v[22:23], v[137:138], v[108:109], -v[12:13]
	v_add_f64 v[122:123], v[169:170], v[173:174]
	v_fma_f64 v[24:25], v[139:140], v[108:109], v[14:15]
	v_mul_f64 v[108:109], v[153:154], v[10:11]
	s_waitcnt vmcnt(1) lgkmcnt(2)
	v_mul_f64 v[130:131], v[94:95], v[126:127]
	v_mul_f64 v[126:127], v[92:93], v[126:127]
	v_add_f64 v[128:129], v[171:172], v[175:176]
	s_waitcnt vmcnt(0) lgkmcnt(1)
	v_mul_f64 v[137:138], v[98:99], v[6:7]
	v_mul_f64 v[139:140], v[96:97], v[6:7]
	v_add_f64 v[162:163], v[165:166], -v[167:168]
	v_fma_f64 v[16:17], v[141:142], v[112:113], -v[16:17]
	v_fma_f64 v[20:21], v[143:144], v[112:113], v[18:19]
	v_fma_f64 v[10:11], v[145:146], v[116:117], -v[106:107]
	v_fma_f64 v[12:13], v[147:148], v[116:117], v[110:111]
	v_fma_f64 v[18:19], v[151:152], v[120:121], v[114:115]
	v_add_f64 v[106:107], v[171:172], -v[175:176]
	v_add_f64 v[116:117], v[169:170], -v[173:174]
	v_mov_b32_e32 v143, 4
	v_fma_f64 v[6:7], v[153:154], v[8:9], -v[118:119]
	v_add_f64 v[118:119], v[165:166], v[167:168]
	v_fma_f64 v[14:15], v[149:150], v[120:121], -v[104:105]
	v_lshlrev_b32_sdwa v91, v143, v91 dst_sel:DWORD dst_unused:UNUSED_PAD src0_sel:DWORD src1_sel:BYTE_0
	v_lshlrev_b32_sdwa v88, v143, v88 dst_sel:DWORD dst_unused:UNUSED_PAD src0_sel:DWORD src1_sel:WORD_0
	v_fma_f64 v[152:153], v[155:156], v[8:9], v[108:109]
	v_fma_f64 v[8:9], v[92:93], v[124:125], -v[130:131]
	v_fma_f64 v[154:155], v[94:95], v[124:125], v[126:127]
	ds_read_b128 v[92:95], v69
	s_waitcnt lgkmcnt(1)
	v_add_f64 v[141:142], v[100:101], v[169:170]
	v_add_f64 v[112:113], v[102:103], v[171:172]
	v_fma_f64 v[156:157], v[96:97], v[4:5], -v[137:138]
	v_fma_f64 v[158:159], v[98:99], v[4:5], v[139:140]
	v_add_f64 v[4:5], v[177:178], v[181:182]
	v_fma_f64 v[104:105], v[122:123], -0.5, v[100:101]
	v_fma_f64 v[114:115], v[128:129], -0.5, v[102:103]
	v_add_f64 v[169:170], v[185:186], v[189:190]
	v_lshl_add_u32 v139, v75, 4, 0
	v_lshl_add_u32 v140, v76, 4, 0
	;; [unrolled: 1-line block ×4, first 2 shown]
	s_waitcnt lgkmcnt(0)
	v_add_f64 v[144:145], v[94:95], v[177:178]
	v_add_f64 v[148:149], v[92:93], v[165:166]
	v_fma_f64 v[150:151], v[118:119], -0.5, v[92:93]
	v_add_f64 v[96:97], v[141:142], v[173:174]
	v_mad_i32_i24 v142, 0xffffff70, v79, v134
	v_add_f64 v[98:99], v[112:113], v[175:176]
	v_add_f64 v[164:165], v[183:184], v[187:188]
	v_fma_f64 v[4:5], v[4:5], -0.5, v[94:95]
	v_mov_b32_e32 v175, 0x1e0
	ds_read_b128 v[108:111], v142
	v_fma_f64 v[100:101], v[106:107], s[0:1], v[104:105]
	v_fma_f64 v[102:103], v[116:117], s[20:21], v[114:115]
	v_lshl_add_u32 v141, v77, 4, 0
	v_mul_u32_u24_sdwa v89, v89, v175 dst_sel:DWORD dst_unused:UNUSED_PAD src0_sel:WORD_0 src1_sel:DWORD
	v_fma_f64 v[104:105], v[106:107], s[20:21], v[104:105]
	v_fma_f64 v[106:107], v[116:117], s[0:1], v[114:115]
	v_mul_u32_u24_sdwa v85, v85, v175 dst_sel:DWORD dst_unused:UNUSED_PAD src0_sel:WORD_0 src1_sel:DWORD
	v_add3_u32 v176, 0, v89, v91
	ds_read_b128 v[91:94], v141
	ds_read_b128 v[112:115], v140
	;; [unrolled: 1-line block ×6, first 2 shown]
	s_waitcnt lgkmcnt(0)
	s_barrier
	buffer_gl0_inv
	v_add_f64 v[146:147], v[144:145], v[181:182]
	v_add_f64 v[144:145], v[148:149], v[167:168]
	v_fma_f64 v[148:149], v[160:161], s[20:21], v[150:151]
	ds_write_b128 v176, v[96:99]
	v_fma_f64 v[95:96], v[160:161], s[0:1], v[150:151]
	v_add_f64 v[171:172], v[110:111], v[185:186]
	v_add_f64 v[173:174], v[108:109], v[183:184]
	v_fma_f64 v[97:98], v[162:163], s[20:21], v[4:5]
	v_fma_f64 v[150:151], v[162:163], s[0:1], v[4:5]
	v_fma_f64 v[4:5], v[164:165], -0.5, v[108:109]
	v_add_f64 v[160:161], v[185:186], -v[189:190]
	v_lshlrev_b32_sdwa v99, v143, v90 dst_sel:DWORD dst_unused:UNUSED_PAD src0_sel:DWORD src1_sel:BYTE_0
	v_fma_f64 v[89:90], v[169:170], -0.5, v[110:111]
	v_add_f64 v[162:163], v[183:184], -v[187:188]
	ds_write_b128 v176, v[100:103] offset:160
	v_mul_u32_u24_e32 v100, 0x1e0, v84
	v_add3_u32 v99, 0, v85, v99
	v_add_f64 v[164:165], v[38:39], v[46:47]
	v_add_f64 v[166:167], v[44:45], v[52:53]
	;; [unrolled: 1-line block ×3, first 2 shown]
	ds_write_b128 v176, v[104:107] offset:320
	v_add_f64 v[103:104], v[42:43], v[28:29]
	v_add_f64 v[84:85], v[50:51], v[34:35]
	;; [unrolled: 1-line block ×3, first 2 shown]
	ds_write_b128 v99, v[144:147]
	ds_write_b128 v99, v[95:98] offset:160
	ds_write_b128 v99, v[148:151] offset:320
	v_add_f64 v[110:111], v[171:172], v[189:190]
	v_add_f64 v[108:109], v[173:174], v[187:188]
	;; [unrolled: 1-line block ×3, first 2 shown]
	v_fma_f64 v[95:96], v[160:161], s[0:1], v[4:5]
	v_add3_u32 v146, 0, v100, v88
	v_fma_f64 v[99:100], v[160:161], s[20:21], v[4:5]
	v_add_f64 v[4:5], v[48:49], v[36:37]
	v_fma_f64 v[97:98], v[162:163], s[20:21], v[89:90]
	v_fma_f64 v[101:102], v[162:163], s[0:1], v[89:90]
	v_fma_f64 v[88:89], v[164:165], -0.5, v[0:1]
	v_add_f64 v[44:45], v[44:45], -v[52:53]
	v_add_f64 v[144:145], v[48:49], -v[36:37]
	v_fma_f64 v[103:104], v[103:104], -0.5, v[91:92]
	v_add_f64 v[90:91], v[91:92], v[42:43]
	v_fma_f64 v[84:85], v[84:85], -0.5, v[93:94]
	v_fma_f64 v[105:106], v[105:106], -0.5, v[112:113]
	ds_write_b128 v146, v[108:111]
	v_fma_f64 v[107:108], v[166:167], -0.5, v[2:3]
	v_add_f64 v[2:3], v[168:169], v[52:53]
	v_add_f64 v[52:53], v[38:39], -v[46:47]
	v_add_f64 v[0:1], v[170:171], v[46:47]
	v_add_f64 v[46:47], v[93:94], v[50:51]
	v_add_f64 v[50:51], v[50:51], -v[34:35]
	v_add_f64 v[92:93], v[42:43], -v[28:29]
	v_add_f64 v[109:110], v[114:115], v[48:49]
	v_add_f64 v[111:112], v[112:113], v[40:41]
	v_fma_f64 v[4:5], v[4:5], -0.5, v[114:115]
	v_add_f64 v[113:114], v[40:41], -v[32:33]
	ds_write_b128 v146, v[95:98] offset:160
	v_add_f64 v[96:97], v[26:27], v[22:23]
	v_lshlrev_b32_sdwa v42, v143, v86 dst_sel:DWORD dst_unused:UNUSED_PAD src0_sel:DWORD src1_sel:WORD_0
	ds_write_b128 v146, v[99:102] offset:320
	v_fma_f64 v[38:39], v[44:45], s[0:1], v[88:89]
	v_add_f64 v[98:99], v[30:31], v[24:25]
	v_add3_u32 v86, 0, v80, v42
	v_fma_f64 v[42:43], v[44:45], s[20:21], v[88:89]
	v_fma_f64 v[88:89], v[144:145], s[0:1], v[105:106]
	;; [unrolled: 1-line block ×4, first 2 shown]
	ds_write_b128 v86, v[0:3]
	v_add_f64 v[2:3], v[46:47], v[34:35]
	v_add_f64 v[0:1], v[90:91], v[28:29]
	v_fma_f64 v[46:47], v[50:51], s[0:1], v[103:104]
	v_fma_f64 v[50:51], v[50:51], s[20:21], v[103:104]
	;; [unrolled: 1-line block ×4, first 2 shown]
	v_add_f64 v[34:35], v[109:110], v[36:37]
	v_add_f64 v[32:33], v[111:112], v[32:33]
	v_fma_f64 v[90:91], v[113:114], s[20:21], v[4:5]
	v_fma_f64 v[92:93], v[144:145], s[20:21], v[105:106]
	;; [unrolled: 1-line block ×3, first 2 shown]
	v_fma_f64 v[4:5], v[96:97], -0.5, v[116:117]
	v_add_f64 v[28:29], v[118:119], v[30:31]
	v_add_f64 v[36:37], v[116:117], v[26:27]
	v_add_f64 v[30:31], v[30:31], -v[24:25]
	v_lshlrev_b32_sdwa v85, v143, v83 dst_sel:DWORD dst_unused:UNUSED_PAD src0_sel:DWORD src1_sel:WORD_0
	v_mul_u32_u24_e32 v96, 0x1e0, v81
	v_add_f64 v[83:84], v[26:27], -v[22:23]
	v_lshlrev_b32_sdwa v26, v143, v87 dst_sel:DWORD dst_unused:UNUSED_PAD src0_sel:DWORD src1_sel:WORD_0
	ds_write_b128 v86, v[38:41] offset:160
	v_add3_u32 v27, 0, v63, v85
	ds_write_b128 v86, v[42:45] offset:320
	v_add_f64 v[38:39], v[16:17], v[10:11]
	v_add3_u32 v26, 0, v96, v26
	v_add_f64 v[40:41], v[20:21], v[12:13]
	ds_write_b128 v27, v[0:3]
	ds_write_b128 v27, v[46:49] offset:160
	v_add_f64 v[42:43], v[14:15], v[6:7]
	ds_write_b128 v27, v[50:53] offset:320
	ds_write_b128 v26, v[32:35]
	ds_write_b128 v26, v[88:91] offset:160
	v_add_f64 v[32:33], v[18:19], v[152:153]
	v_fma_f64 v[80:81], v[98:99], -0.5, v[118:119]
	v_add_f64 v[34:35], v[8:9], v[156:157]
	ds_write_b128 v26, v[92:95] offset:320
	v_mul_u32_u24_e32 v52, 0x1e0, v60
	v_add_f64 v[2:3], v[28:29], v[24:25]
	v_add_f64 v[0:1], v[36:37], v[22:23]
	v_fma_f64 v[22:23], v[30:31], s[0:1], v[4:5]
	v_fma_f64 v[26:27], v[30:31], s[20:21], v[4:5]
	v_add_f64 v[4:5], v[154:155], v[158:159]
	v_add_f64 v[30:31], v[122:123], v[20:21]
	;; [unrolled: 1-line block ×3, first 2 shown]
	v_lshlrev_b32_sdwa v53, v143, v61 dst_sel:DWORD dst_unused:UNUSED_PAD src0_sel:DWORD src1_sel:WORD_0
	v_add_f64 v[20:21], v[20:21], -v[12:13]
	v_add_f64 v[16:17], v[16:17], -v[10:11]
	v_fma_f64 v[38:39], v[38:39], -0.5, v[120:121]
	v_add_f64 v[44:45], v[126:127], v[18:19]
	v_fma_f64 v[40:41], v[40:41], -0.5, v[122:123]
	v_add_f64 v[46:47], v[124:125], v[14:15]
	v_add_f64 v[48:49], v[18:19], -v[152:153]
	v_fma_f64 v[42:43], v[42:43], -0.5, v[124:125]
	v_add_f64 v[50:51], v[14:15], -v[6:7]
	v_fma_f64 v[32:33], v[32:33], -0.5, v[126:127]
	v_add3_u32 v63, 0, v52, v53
	v_add_f64 v[52:53], v[130:131], v[154:155]
	v_add_f64 v[60:61], v[128:129], v[8:9]
	v_fma_f64 v[24:25], v[83:84], s[20:21], v[80:81]
	v_fma_f64 v[28:29], v[83:84], s[0:1], v[80:81]
	v_fma_f64 v[80:81], v[34:35], -0.5, v[128:129]
	v_add_f64 v[83:84], v[154:155], -v[158:159]
	v_add_f64 v[87:88], v[8:9], -v[156:157]
	v_fma_f64 v[85:86], v[4:5], -0.5, v[130:131]
	ds_write_b128 v63, v[0:3]
	v_add_f64 v[2:3], v[30:31], v[12:13]
	v_add_f64 v[0:1], v[36:37], v[10:11]
	v_mul_u32_u24_e32 v4, 0x1e0, v62
	v_lshlrev_b32_sdwa v5, v143, v82 dst_sel:DWORD dst_unused:UNUSED_PAD src0_sel:DWORD src1_sel:WORD_0
	v_mul_lo_u16 v12, 0x89, v55
	v_fma_f64 v[8:9], v[20:21], s[0:1], v[38:39]
	v_fma_f64 v[13:14], v[20:21], s[20:21], v[38:39]
	v_fma_f64 v[10:11], v[16:17], s[20:21], v[40:41]
	v_fma_f64 v[15:16], v[16:17], s[0:1], v[40:41]
	v_add3_u32 v21, 0, v4, v5
	v_add_f64 v[19:20], v[44:45], v[152:153]
	v_add_f64 v[17:18], v[46:47], v[6:7]
	v_fma_f64 v[4:5], v[48:49], s[0:1], v[42:43]
	v_fma_f64 v[6:7], v[50:51], s[20:21], v[32:33]
	;; [unrolled: 1-line block ×4, first 2 shown]
	v_add_f64 v[36:37], v[52:53], v[158:159]
	v_add_f64 v[34:35], v[60:61], v[156:157]
	v_lshrrev_b16 v148, 12, v12
	v_fma_f64 v[38:39], v[83:84], s[0:1], v[80:81]
	v_fma_f64 v[40:41], v[87:88], s[20:21], v[85:86]
	;; [unrolled: 1-line block ×4, first 2 shown]
	v_mul_u32_u24_e32 v12, 0x1e0, v56
	v_lshlrev_b32_sdwa v46, v143, v59 dst_sel:DWORD dst_unused:UNUSED_PAD src0_sel:DWORD src1_sel:WORD_0
	ds_write_b128 v63, v[22:25] offset:160
	ds_write_b128 v63, v[26:29] offset:320
	v_mul_lo_u16 v22, v148, 30
	ds_write_b128 v21, v[0:3]
	v_mul_u32_u24_e32 v1, 0x1e0, v57
	v_add3_u32 v0, 0, v12, v46
	v_lshlrev_b32_sdwa v2, v143, v58 dst_sel:DWORD dst_unused:UNUSED_PAD src0_sel:DWORD src1_sel:WORD_0
	v_sub_nc_u16 v149, v64, v22
	v_mov_b32_e32 v12, 9
	ds_write_b128 v21, v[8:11] offset:160
	ds_write_b128 v21, v[13:16] offset:320
	ds_write_b128 v0, v[17:20]
	v_add3_u32 v1, 0, v1, v2
	ds_write_b128 v0, v[4:7] offset:160
	ds_write_b128 v0, v[30:33] offset:320
	ds_write_b128 v1, v[34:37]
	ds_write_b128 v1, v[38:41] offset:160
	v_mul_u32_u24_sdwa v2, v149, v12 dst_sel:DWORD dst_unused:UNUSED_PAD src0_sel:BYTE_0 src1_sel:DWORD
	v_mul_lo_u16 v25, 0x89, v54
	v_mov_b32_e32 v41, 0x8889
	s_add_u32 s1, s12, 0xbae0
	ds_write_b128 v1, v[42:45] offset:320
	v_lshlrev_b32_e32 v33, 4, v2
	s_waitcnt lgkmcnt(0)
	s_barrier
	buffer_gl0_inv
	s_clause 0x5
	global_load_dwordx4 v[4:7], v33, s[12:13] offset:320
	global_load_dwordx4 v[0:3], v33, s[12:13] offset:336
	;; [unrolled: 1-line block ×6, first 2 shown]
	v_lshrrev_b16 v144, 12, v25
	global_load_dwordx4 v[29:32], v33, s[12:13] offset:432
	v_mul_u32_u24_sdwa v92, v79, v41 dst_sel:DWORD dst_unused:UNUSED_PAD src0_sel:WORD_0 src1_sel:DWORD
	v_mul_lo_u16 v25, v144, 30
	v_lshrrev_b32_e32 v146, 20, v92
	v_sub_nc_u16 v145, v68, v25
	global_load_dwordx4 v[25:28], v33, s[12:13] offset:416
	v_mul_lo_u16 v94, v146, 30
	v_mul_u32_u24_sdwa v34, v145, v12 dst_sel:DWORD dst_unused:UNUSED_PAD src0_sel:BYTE_0 src1_sel:DWORD
	v_sub_nc_u16 v147, v79, v94
	v_lshlrev_b32_e32 v43, 4, v34
	s_clause 0x5
	global_load_dwordx4 v[33:36], v33, s[12:13] offset:448
	global_load_dwordx4 v[37:40], v43, s[12:13] offset:320
	global_load_dwordx4 v[44:47], v43, s[12:13] offset:336
	global_load_dwordx4 v[48:51], v43, s[12:13] offset:352
	global_load_dwordx4 v[52:55], v43, s[12:13] offset:368
	global_load_dwordx4 v[84:87], v43, s[12:13] offset:384
	ds_read_b128 v[56:59], v136
	global_load_dwordx4 v[88:91], v43, s[12:13] offset:400
	ds_read_b128 v[60:63], v139
	ds_read_b128 v[80:83], v135
	ds_read_b128 v[104:107], v132 offset:19200
	ds_read_b128 v[108:111], v132 offset:24000
	ds_read_b128 v[112:115], v132 offset:32000
	global_load_dwordx4 v[120:123], v43, s[12:13] offset:416
	ds_read_b128 v[116:119], v132 offset:28800
	ds_read_b128 v[124:127], v132 offset:20800
	;; [unrolled: 1-line block ×6, first 2 shown]
	v_mul_u32_u24_sdwa v176, v147, v12 dst_sel:DWORD dst_unused:UNUSED_PAD src0_sel:WORD_0 src1_sel:DWORD
	v_lshlrev_b32_e32 v194, 4, v176
	s_waitcnt vmcnt(15) lgkmcnt(11)
	v_mul_f64 v[41:42], v[58:59], v[6:7]
	v_mul_f64 v[6:7], v[56:57], v[6:7]
	s_waitcnt vmcnt(13) lgkmcnt(9)
	v_mul_f64 v[100:101], v[82:83], v[10:11]
	v_mul_f64 v[10:11], v[80:81], v[10:11]
	;; [unrolled: 1-line block ×4, first 2 shown]
	s_waitcnt vmcnt(12) lgkmcnt(8)
	v_mul_f64 v[170:171], v[106:107], v[15:16]
	v_mul_f64 v[15:16], v[104:105], v[15:16]
	s_waitcnt vmcnt(11) lgkmcnt(7)
	v_mul_f64 v[172:173], v[110:111], v[19:20]
	v_mul_f64 v[19:20], v[108:109], v[19:20]
	v_fma_f64 v[94:95], v[56:57], v[4:5], -v[41:42]
	s_waitcnt vmcnt(10) lgkmcnt(5)
	v_mul_f64 v[41:42], v[118:119], v[23:24]
	v_fma_f64 v[96:97], v[58:59], v[4:5], v[6:7]
	ds_read_b128 v[56:59], v132 offset:43200
	s_clause 0x1
	global_load_dwordx4 v[162:165], v43, s[12:13] offset:432
	global_load_dwordx4 v[166:169], v43, s[12:13] offset:448
	v_mul_f64 v[6:7], v[116:117], v[23:24]
	v_fma_f64 v[102:103], v[80:81], v[8:9], -v[100:101]
	v_fma_f64 v[100:101], v[82:83], v[8:9], v[10:11]
	s_waitcnt vmcnt(10) lgkmcnt(4)
	v_mul_f64 v[80:81], v[130:131], v[27:28]
	v_mul_f64 v[27:28], v[128:129], v[27:28]
	s_waitcnt lgkmcnt(2)
	v_mul_f64 v[82:83], v[156:157], v[31:32]
	v_mul_f64 v[31:32], v[154:155], v[31:32]
	v_fma_f64 v[2:3], v[60:61], v[0:1], -v[92:93]
	v_fma_f64 v[0:1], v[62:63], v[0:1], v[98:99]
	ds_read_b128 v[60:63], v132 offset:6400
	v_fma_f64 v[4:5], v[106:107], v[13:14], v[15:16]
	v_fma_f64 v[182:183], v[108:109], v[17:18], -v[172:173]
	v_fma_f64 v[184:185], v[110:111], v[17:18], v[19:20]
	ds_read_b128 v[108:111], v132 offset:44800
	ds_read_b128 v[16:19], v132 offset:11200
	v_fma_f64 v[8:9], v[104:105], v[13:14], -v[170:171]
	ds_read_b128 v[12:15], v132 offset:35200
	ds_read_b128 v[104:107], v132 offset:36800
	v_fma_f64 v[10:11], v[116:117], v[21:22], -v[41:42]
	s_waitcnt vmcnt(9) lgkmcnt(5)
	v_mul_f64 v[41:42], v[58:59], v[35:36]
	v_mul_f64 v[35:36], v[56:57], v[35:36]
	v_fma_f64 v[92:93], v[118:119], v[21:22], v[6:7]
	ds_read_b128 v[20:23], v132 offset:16000
	ds_read_b128 v[116:119], v132 offset:8000
	v_fma_f64 v[186:187], v[128:129], v[25:26], -v[80:81]
	v_fma_f64 v[188:189], v[130:131], v[25:26], v[27:28]
	s_clause 0x1
	global_load_dwordx4 v[24:27], v194, s[12:13] offset:320
	global_load_dwordx4 v[128:131], v194, s[12:13] offset:336
	v_fma_f64 v[6:7], v[156:157], v[29:30], v[31:32]
	s_waitcnt vmcnt(10) lgkmcnt(6)
	v_mul_f64 v[174:175], v[62:63], v[39:40]
	v_mul_f64 v[39:40], v[60:61], v[39:40]
	v_fma_f64 v[98:99], v[154:155], v[29:30], -v[82:83]
	ds_read_b128 v[154:157], v132 offset:12800
	ds_read_b128 v[170:173], v132 offset:17600
	s_waitcnt vmcnt(9) lgkmcnt(6)
	v_mul_f64 v[80:81], v[18:19], v[46:47]
	v_mul_f64 v[46:47], v[16:17], v[46:47]
	ds_read_b128 v[28:31], v132 offset:25600
	v_fma_f64 v[190:191], v[56:57], v[33:34], -v[41:42]
	v_fma_f64 v[192:193], v[58:59], v[33:34], v[35:36]
	s_waitcnt vmcnt(8) lgkmcnt(4)
	v_mul_f64 v[32:33], v[22:23], v[50:51]
	v_mul_f64 v[34:35], v[20:21], v[50:51]
	s_waitcnt vmcnt(7)
	v_mul_f64 v[50:51], v[126:127], v[54:55]
	v_mul_f64 v[54:55], v[124:125], v[54:55]
	v_fma_f64 v[60:61], v[60:61], v[37:38], -v[174:175]
	v_fma_f64 v[62:63], v[62:63], v[37:38], v[39:40]
	v_fma_f64 v[42:43], v[16:17], v[44:45], -v[80:81]
	v_fma_f64 v[40:41], v[18:19], v[44:45], v[46:47]
	s_clause 0x1
	global_load_dwordx4 v[16:19], v194, s[12:13] offset:352
	global_load_dwordx4 v[36:39], v194, s[12:13] offset:368
	v_fma_f64 v[82:83], v[20:21], v[48:49], -v[32:33]
	v_fma_f64 v[80:81], v[22:23], v[48:49], v[34:35]
	ds_read_b128 v[20:23], v132 offset:27200
	v_fma_f64 v[46:47], v[124:125], v[52:53], -v[50:51]
	v_fma_f64 v[44:45], v[126:127], v[52:53], v[54:55]
	s_clause 0x2
	global_load_dwordx4 v[124:127], v194, s[12:13] offset:384
	global_load_dwordx4 v[174:177], v194, s[12:13] offset:400
	;; [unrolled: 1-line block ×3, first 2 shown]
	s_waitcnt vmcnt(11) lgkmcnt(1)
	v_mul_f64 v[32:33], v[30:31], v[86:87]
	v_mul_f64 v[34:35], v[28:29], v[86:87]
	v_fma_f64 v[56:57], v[28:29], v[84:85], -v[32:33]
	v_fma_f64 v[58:59], v[30:31], v[84:85], v[34:35]
	s_waitcnt vmcnt(10)
	v_mul_f64 v[28:29], v[160:161], v[90:91]
	v_mul_f64 v[30:31], v[158:159], v[90:91]
	s_waitcnt vmcnt(9)
	v_mul_f64 v[32:33], v[14:15], v[122:123]
	v_mul_f64 v[34:35], v[12:13], v[122:123]
	v_fma_f64 v[52:53], v[158:159], v[88:89], -v[28:29]
	v_fma_f64 v[54:55], v[160:161], v[88:89], v[30:31]
	ds_read_b128 v[28:31], v132 offset:40000
	v_fma_f64 v[48:49], v[12:13], v[120:121], -v[32:33]
	v_fma_f64 v[50:51], v[14:15], v[120:121], v[34:35]
	ds_read_b128 v[120:123], v132 offset:41600
	v_add_f64 v[158:159], v[0:1], -v[4:5]
	v_add_f64 v[160:161], v[6:7], -v[92:93]
	v_add_f64 v[158:159], v[158:159], v[160:161]
	v_add_f64 v[160:161], v[182:183], v[186:187]
	s_waitcnt vmcnt(8) lgkmcnt(1)
	v_mul_f64 v[12:13], v[30:31], v[164:165]
	v_mul_f64 v[14:15], v[28:29], v[164:165]
	s_waitcnt vmcnt(7)
	v_mul_f64 v[32:33], v[110:111], v[168:169]
	v_add_f64 v[164:165], v[190:191], -v[186:187]
	v_fma_f64 v[84:85], v[28:29], v[162:163], -v[12:13]
	v_mul_f64 v[12:13], v[108:109], v[168:169]
	v_fma_f64 v[86:87], v[30:31], v[162:163], v[14:15]
	v_fma_f64 v[88:89], v[108:109], v[166:167], -v[32:33]
	v_add_f64 v[32:33], v[94:95], v[102:103]
	v_add_f64 v[108:109], v[96:97], v[100:101]
	s_waitcnt vmcnt(6)
	v_mul_f64 v[14:15], v[118:119], v[26:27]
	v_mul_f64 v[26:27], v[116:117], v[26:27]
	s_waitcnt vmcnt(5)
	v_mul_f64 v[34:35], v[156:157], v[130:131]
	v_add_f64 v[162:163], v[102:103], -v[182:183]
	v_fma_f64 v[90:91], v[110:111], v[166:167], v[12:13]
	v_mul_f64 v[12:13], v[154:155], v[130:131]
	v_fma_f64 v[28:29], v[116:117], v[24:25], -v[14:15]
	v_fma_f64 v[30:31], v[118:119], v[24:25], v[26:27]
	v_fma_f64 v[14:15], v[154:155], v[128:129], -v[34:35]
	v_add_f64 v[154:155], v[32:33], v[182:183]
	s_waitcnt vmcnt(4)
	v_mul_f64 v[110:111], v[172:173], v[18:19]
	v_mul_f64 v[18:19], v[170:171], v[18:19]
	s_waitcnt vmcnt(3)
	v_mul_f64 v[24:25], v[152:153], v[38:39]
	v_mul_f64 v[26:27], v[150:151], v[38:39]
	v_fma_f64 v[12:13], v[156:157], v[128:129], v[12:13]
	v_add_f64 v[156:157], v[108:109], v[184:185]
	s_waitcnt vmcnt(2)
	v_mul_f64 v[38:39], v[22:23], v[126:127]
	v_mul_f64 v[116:117], v[20:21], v[126:127]
	s_waitcnt vmcnt(1)
	v_mul_f64 v[130:131], v[112:113], v[176:177]
	global_load_dwordx4 v[126:129], v194, s[12:13] offset:432
	v_mul_f64 v[118:119], v[114:115], v[176:177]
	v_add_f64 v[176:177], v[100:101], -v[192:193]
	v_fma_f64 v[34:35], v[170:171], v[16:17], -v[110:111]
	v_fma_f64 v[32:33], v[172:173], v[16:17], v[18:19]
	v_fma_f64 v[18:19], v[150:151], v[36:37], -v[24:25]
	v_fma_f64 v[16:17], v[152:153], v[36:37], v[26:27]
	s_waitcnt vmcnt(1)
	v_mul_f64 v[36:37], v[106:107], v[180:181]
	v_mul_f64 v[150:151], v[104:105], v[180:181]
	ds_read_b128 v[108:111], v132
	v_add_f64 v[172:173], v[182:183], -v[102:103]
	v_add_f64 v[180:181], v[192:193], -v[188:189]
	v_fma_f64 v[24:25], v[20:21], v[124:125], -v[38:39]
	v_fma_f64 v[26:27], v[22:23], v[124:125], v[116:117]
	v_fma_f64 v[20:21], v[114:115], v[174:175], v[130:131]
	v_add_f64 v[124:125], v[154:155], v[186:187]
	v_add_f64 v[130:131], v[156:157], v[188:189]
	v_add_f64 v[154:155], v[2:3], -v[8:9]
	v_add_f64 v[156:157], v[98:99], -v[10:11]
	v_fma_f64 v[22:23], v[112:113], v[174:175], -v[118:119]
	v_add_f64 v[112:113], v[8:9], v[10:11]
	v_add_f64 v[114:115], v[2:3], v[98:99]
	;; [unrolled: 1-line block ×4, first 2 shown]
	v_add_f64 v[174:175], v[186:187], -v[190:191]
	v_fma_f64 v[36:37], v[104:105], v[178:179], -v[36:37]
	v_add_f64 v[104:105], v[184:185], v[188:189]
	v_fma_f64 v[38:39], v[106:107], v[178:179], v[150:151]
	ds_read_b128 v[150:153], v132 offset:46400
	v_add_f64 v[178:179], v[184:185], -v[188:189]
	v_add_f64 v[166:167], v[124:125], v[190:191]
	v_add_f64 v[124:125], v[162:163], v[164:165]
	v_add_f64 v[162:163], v[102:103], -v[190:191]
	v_add_f64 v[170:171], v[154:155], v[156:157]
	global_load_dwordx4 v[154:157], v194, s[12:13] offset:448
	s_waitcnt lgkmcnt(1)
	v_fma_f64 v[106:107], v[112:113], -0.5, v[108:109]
	v_fma_f64 v[112:113], v[114:115], -0.5, v[108:109]
	;; [unrolled: 1-line block ×3, first 2 shown]
	v_add_f64 v[116:117], v[100:101], v[192:193]
	v_add_f64 v[102:103], v[102:103], v[190:191]
	v_add_f64 v[108:109], v[108:109], v[2:3]
	v_add_f64 v[168:169], v[130:131], v[192:193]
	v_fma_f64 v[104:105], v[104:105], -0.5, v[96:97]
	v_add_f64 v[130:131], v[100:101], -v[184:185]
	v_add_f64 v[164:165], v[182:183], -v[186:187]
	v_fma_f64 v[118:119], v[118:119], -0.5, v[110:111]
	v_add_f64 v[110:111], v[110:111], v[0:1]
	v_add_f64 v[172:173], v[172:173], v[174:175]
	v_add_f64 v[100:101], v[184:185], -v[100:101]
	v_add_f64 v[182:183], v[188:189], -v[192:193]
	v_fma_f64 v[96:97], v[116:117], -0.5, v[96:97]
	v_fma_f64 v[116:117], v[160:161], -0.5, v[94:95]
	;; [unrolled: 1-line block ×3, first 2 shown]
	v_add_f64 v[108:109], v[108:109], v[8:9]
	v_fma_f64 v[102:103], v[162:163], s[16:17], v[104:105]
	v_add_f64 v[130:131], v[130:131], v[180:181]
	v_fma_f64 v[104:105], v[162:163], s[14:15], v[104:105]
	v_add_f64 v[110:111], v[110:111], v[4:5]
	v_add_f64 v[100:101], v[100:101], v[182:183]
	v_fma_f64 v[180:181], v[164:165], s[14:15], v[96:97]
	v_fma_f64 v[160:161], v[176:177], s[14:15], v[116:117]
	;; [unrolled: 1-line block ×7, first 2 shown]
	v_add_f64 v[108:109], v[108:109], v[10:11]
	v_fma_f64 v[104:105], v[164:165], s[4:5], v[104:105]
	v_add_f64 v[164:165], v[8:9], -v[10:11]
	v_add_f64 v[110:111], v[110:111], v[92:93]
	v_fma_f64 v[180:181], v[162:163], s[8:9], v[180:181]
	v_fma_f64 v[160:161], v[178:179], s[4:5], v[160:161]
	;; [unrolled: 1-line block ×4, first 2 shown]
	v_add_f64 v[176:177], v[0:1], -v[6:7]
	v_fma_f64 v[102:103], v[130:131], s[6:7], v[102:103]
	v_fma_f64 v[96:97], v[162:163], s[4:5], v[96:97]
	v_add_f64 v[162:163], v[2:3], -v[98:99]
	v_fma_f64 v[116:117], v[178:179], s[8:9], v[116:117]
	v_add_f64 v[178:179], v[4:5], -v[92:93]
	v_add_f64 v[2:3], v[8:9], -v[2:3]
	;; [unrolled: 1-line block ×4, first 2 shown]
	v_add_f64 v[182:183], v[108:109], v[98:99]
	v_add_f64 v[0:1], v[4:5], -v[0:1]
	v_fma_f64 v[104:105], v[130:131], s[6:7], v[104:105]
	v_add_f64 v[186:187], v[110:111], v[6:7]
	v_fma_f64 v[180:181], v[100:101], s[6:7], v[180:181]
	v_fma_f64 v[160:161], v[124:125], s[6:7], v[160:161]
	;; [unrolled: 1-line block ×5, first 2 shown]
	v_mul_f64 v[4:5], v[102:103], s[4:5]
	v_fma_f64 v[96:97], v[100:101], s[6:7], v[96:97]
	v_fma_f64 v[98:99], v[162:163], s[16:17], v[114:115]
	;; [unrolled: 1-line block ×9, first 2 shown]
	v_add_f64 v[2:3], v[2:3], v[8:9]
	v_add_f64 v[0:1], v[0:1], v[10:11]
	v_mul_f64 v[8:9], v[180:181], s[14:15]
	v_mul_f64 v[116:117], v[160:161], s[8:9]
	;; [unrolled: 1-line block ×3, first 2 shown]
	v_fma_f64 v[92:93], v[178:179], s[4:5], v[92:93]
	v_fma_f64 v[108:109], v[160:161], s[18:19], v[4:5]
	;; [unrolled: 1-line block ×6, first 2 shown]
	v_mul_f64 v[162:163], v[172:173], s[6:7]
	v_fma_f64 v[110:111], v[102:103], s[18:19], v[116:117]
	v_fma_f64 v[102:103], v[178:179], s[8:9], v[106:107]
	;; [unrolled: 1-line block ×4, first 2 shown]
	v_mul_f64 v[164:165], v[184:185], s[18:19]
	v_mul_f64 v[178:179], v[104:105], s[18:19]
	v_fma_f64 v[118:119], v[158:159], s[6:7], v[98:99]
	v_fma_f64 v[130:131], v[0:1], s[6:7], v[100:101]
	;; [unrolled: 1-line block ×4, first 2 shown]
	v_add_f64 v[0:1], v[182:183], -v[166:167]
	v_fma_f64 v[100:101], v[170:171], s[6:7], v[102:103]
	v_fma_f64 v[102:103], v[158:159], s[6:7], v[106:107]
	v_lshlrev_b32_sdwa v158, v143, v149 dst_sel:DWORD dst_unused:UNUSED_PAD src0_sel:DWORD src1_sel:BYTE_0
	v_fma_f64 v[104:105], v[104:105], s[4:5], -v[164:165]
	v_fma_f64 v[106:107], v[184:185], s[8:9], -v[178:179]
	v_add_f64 v[164:165], v[80:81], -v[90:91]
	s_waitcnt vmcnt(1)
	v_mul_f64 v[124:125], v[122:123], v[128:129]
	v_mul_f64 v[6:7], v[120:121], v[128:129]
	v_fma_f64 v[128:129], v[176:177], s[4:5], v[94:95]
	v_mul_f64 v[176:177], v[96:97], s[6:7]
	v_fma_f64 v[92:93], v[120:121], v[126:127], -v[124:125]
	v_fma_f64 v[94:95], v[122:123], v[126:127], v[6:7]
	v_fma_f64 v[120:121], v[174:175], s[6:7], v[8:9]
	;; [unrolled: 1-line block ×4, first 2 shown]
	v_fma_f64 v[124:125], v[96:97], s[14:15], -v[162:163]
	v_fma_f64 v[126:127], v[172:173], s[16:17], -v[176:177]
	v_add_f64 v[8:9], v[116:117], v[108:109]
	v_add_f64 v[116:117], v[116:117], -v[108:109]
	v_mov_b32_e32 v108, 0x12c0
	v_add_f64 v[6:7], v[186:187], v[168:169]
	v_add_f64 v[10:11], v[118:119], v[110:111]
	v_add_f64 v[118:119], v[118:119], -v[110:111]
	v_add_f64 v[162:163], v[82:83], -v[88:89]
	;; [unrolled: 1-line block ×4, first 2 shown]
	s_waitcnt vmcnt(0) lgkmcnt(0)
	v_mul_f64 v[4:5], v[152:153], v[156:157]
	v_mul_f64 v[156:157], v[150:151], v[156:157]
	v_add_f64 v[109:110], v[112:113], -v[124:125]
	v_fma_f64 v[96:97], v[150:151], v[154:155], -v[4:5]
	v_fma_f64 v[98:99], v[152:153], v[154:155], v[156:157]
	v_add_f64 v[154:155], v[56:57], v[48:49]
	v_add_f64 v[156:157], v[58:59], v[50:51]
	;; [unrolled: 1-line block ×5, first 2 shown]
	v_add_f64 v[120:121], v[128:129], -v[120:121]
	v_add_f64 v[122:123], v[130:131], -v[122:123]
	v_add_f64 v[128:129], v[112:113], v[124:125]
	v_add_f64 v[130:131], v[114:115], v[126:127]
	v_add_f64 v[111:112], v[114:115], -v[126:127]
	v_mul_u32_u24_sdwa v115, v148, v108 dst_sel:DWORD dst_unused:UNUSED_PAD src0_sel:WORD_0 src1_sel:DWORD
	v_add_f64 v[113:114], v[80:81], v[90:91]
	v_add_f64 v[148:149], v[82:83], v[88:89]
	;; [unrolled: 1-line block ×4, first 2 shown]
	v_add3_u32 v174, 0, v115, v158
	v_add_f64 v[100:101], v[100:101], -v[104:105]
	v_add_f64 v[102:103], v[102:103], -v[106:107]
	;; [unrolled: 1-line block ×3, first 2 shown]
	v_fma_f64 v[158:159], v[154:155], -0.5, v[60:61]
	v_fma_f64 v[160:161], v[156:157], -0.5, v[62:63]
	ds_read_b128 v[104:107], v69
	ds_read_b128 v[154:157], v142
	s_waitcnt lgkmcnt(0)
	s_barrier
	buffer_gl0_inv
	ds_write_b128 v174, v[4:7]
	ds_write_b128 v174, v[8:11] offset:480
	ds_write_b128 v174, v[150:153] offset:960
	;; [unrolled: 1-line block ×3, first 2 shown]
	v_add_f64 v[8:9], v[56:57], -v[48:49]
	v_add_f64 v[10:11], v[58:59], -v[50:51]
	v_add_f64 v[4:5], v[46:47], v[52:53]
	v_add_f64 v[6:7], v[42:43], v[84:85]
	v_fma_f64 v[113:114], v[113:114], -0.5, v[62:63]
	v_fma_f64 v[128:129], v[148:149], -0.5, v[60:61]
	v_add_f64 v[130:131], v[44:45], v[54:55]
	v_add_f64 v[148:149], v[40:41], v[86:87]
	v_add_f64 v[150:151], v[82:83], -v[56:57]
	v_add_f64 v[152:153], v[88:89], -v[48:49]
	ds_write_b128 v174, v[124:127] offset:1920
	ds_write_b128 v174, v[0:3] offset:2400
	v_add_f64 v[60:61], v[60:61], v[82:83]
	v_add_f64 v[62:63], v[62:63], v[80:81]
	v_add_f64 v[82:83], v[56:57], -v[82:83]
	v_add_f64 v[0:1], v[104:105], v[42:43]
	v_fma_f64 v[172:173], v[164:165], s[14:15], v[158:159]
	v_fma_f64 v[170:171], v[162:163], s[16:17], v[160:161]
	v_add_f64 v[2:3], v[106:107], v[40:41]
	v_add_f64 v[124:125], v[48:49], -v[88:89]
	v_add_f64 v[80:81], v[58:59], -v[80:81]
	v_add_f64 v[126:127], v[50:51], -v[90:91]
	ds_write_b128 v174, v[116:119] offset:2880
	ds_write_b128 v174, v[120:123] offset:3360
	v_add_f64 v[121:122], v[166:167], v[168:169]
	v_add_f64 v[166:167], v[40:41], -v[44:45]
	v_fma_f64 v[4:5], v[4:5], -0.5, v[104:105]
	v_fma_f64 v[6:7], v[6:7], -0.5, v[104:105]
	v_fma_f64 v[115:116], v[8:9], s[14:15], v[113:114]
	v_fma_f64 v[117:118], v[10:11], s[16:17], v[128:129]
	v_fma_f64 v[104:105], v[130:131], -0.5, v[106:107]
	v_fma_f64 v[106:107], v[148:149], -0.5, v[106:107]
	v_fma_f64 v[128:129], v[10:11], s[14:15], v[128:129]
	v_add_f64 v[119:120], v[150:151], v[152:153]
	v_fma_f64 v[113:114], v[8:9], s[16:17], v[113:114]
	v_add_f64 v[150:151], v[40:41], -v[86:87]
	v_add_f64 v[152:153], v[42:43], -v[84:85]
	v_add_f64 v[56:57], v[60:61], v[56:57]
	v_add_f64 v[0:1], v[0:1], v[46:47]
	v_fma_f64 v[148:149], v[10:11], s[4:5], v[172:173]
	v_fma_f64 v[130:131], v[8:9], s[8:9], v[170:171]
	v_add_f64 v[2:3], v[2:3], v[44:45]
	v_add_f64 v[58:59], v[62:63], v[58:59]
	;; [unrolled: 1-line block ×4, first 2 shown]
	v_fma_f64 v[80:81], v[164:165], s[16:17], v[158:159]
	v_fma_f64 v[82:83], v[162:163], s[14:15], v[160:161]
	v_add_f64 v[123:124], v[44:45], -v[54:55]
	v_add_f64 v[125:126], v[46:47], -v[52:53]
	;; [unrolled: 1-line block ×3, first 2 shown]
	v_fma_f64 v[115:116], v[162:163], s[8:9], v[115:116]
	v_fma_f64 v[117:118], v[164:165], s[4:5], v[117:118]
	v_add_f64 v[160:161], v[84:85], -v[52:53]
	v_add_f64 v[168:169], v[86:87], -v[54:55]
	v_fma_f64 v[127:128], v[164:165], s[8:9], v[128:129]
	v_add_f64 v[42:43], v[46:47], -v[42:43]
	v_fma_f64 v[113:114], v[162:163], s[4:5], v[113:114]
	v_fma_f64 v[162:163], v[150:151], s[14:15], v[4:5]
	;; [unrolled: 1-line block ×3, first 2 shown]
	v_add_f64 v[46:47], v[52:53], -v[84:85]
	v_add_f64 v[40:41], v[44:45], -v[40:41]
	v_fma_f64 v[148:149], v[119:120], s[6:7], v[148:149]
	v_fma_f64 v[130:131], v[121:122], s[6:7], v[130:131]
	v_add_f64 v[44:45], v[54:55], -v[86:87]
	v_add_f64 v[0:1], v[0:1], v[52:53]
	v_add_f64 v[2:3], v[2:3], v[54:55]
	v_add_f64 v[48:49], v[56:57], v[48:49]
	v_fma_f64 v[10:11], v[10:11], s[8:9], v[80:81]
	v_fma_f64 v[8:9], v[8:9], s[4:5], v[82:83]
	;; [unrolled: 1-line block ×4, first 2 shown]
	v_add_f64 v[50:51], v[58:59], v[50:51]
	v_fma_f64 v[52:53], v[62:63], s[6:7], v[115:116]
	v_fma_f64 v[54:55], v[60:61], s[6:7], v[117:118]
	;; [unrolled: 1-line block ×3, first 2 shown]
	v_add_f64 v[56:57], v[158:159], v[160:161]
	v_add_f64 v[58:59], v[166:167], v[168:169]
	v_fma_f64 v[106:107], v[125:126], s[16:17], v[106:107]
	v_fma_f64 v[60:61], v[60:61], s[6:7], v[127:128]
	;; [unrolled: 1-line block ×5, first 2 shown]
	v_add_f64 v[42:43], v[42:43], v[46:47]
	v_mul_f64 v[115:116], v[148:149], s[8:9]
	v_mul_f64 v[113:114], v[130:131], s[4:5]
	v_add_f64 v[40:41], v[40:41], v[44:45]
	v_fma_f64 v[4:5], v[150:151], s[16:17], v[4:5]
	v_fma_f64 v[44:45], v[152:153], s[14:15], v[104:105]
	v_add_f64 v[84:85], v[0:1], v[84:85]
	v_fma_f64 v[46:47], v[119:120], s[6:7], v[10:11]
	v_fma_f64 v[104:105], v[121:122], s[6:7], v[8:9]
	v_fma_f64 v[80:81], v[150:151], s[4:5], v[80:81]
	v_fma_f64 v[82:83], v[152:153], s[8:9], v[82:83]
	v_add_f64 v[86:87], v[2:3], v[86:87]
	v_mul_f64 v[8:9], v[52:53], s[14:15]
	v_mul_f64 v[10:11], v[54:55], s[16:17]
	v_add_f64 v[48:49], v[48:49], v[88:89]
	v_add_f64 v[50:51], v[50:51], v[90:91]
	v_fma_f64 v[6:7], v[150:151], s[8:9], v[6:7]
	v_fma_f64 v[88:89], v[152:153], s[4:5], v[106:107]
	ds_write_b128 v174, v[109:112] offset:3840
	ds_write_b128 v174, v[100:103] offset:4320
	v_add_f64 v[119:120], v[24:25], v[36:37]
	v_fma_f64 v[109:110], v[56:57], s[6:7], v[117:118]
	v_fma_f64 v[111:112], v[58:59], s[6:7], v[127:128]
	v_add_f64 v[121:122], v[26:27], v[38:39]
	v_fma_f64 v[102:103], v[130:131], s[18:19], v[115:116]
	v_fma_f64 v[100:101], v[148:149], s[18:19], v[113:114]
	v_mul_f64 v[90:91], v[60:61], s[6:7]
	v_mul_f64 v[106:107], v[62:63], s[6:7]
	v_fma_f64 v[113:114], v[123:124], s[8:9], v[4:5]
	v_fma_f64 v[44:45], v[125:126], s[4:5], v[44:45]
	v_mul_f64 v[115:116], v[46:47], s[18:19]
	v_mul_f64 v[117:118], v[104:105], s[18:19]
	v_fma_f64 v[80:81], v[42:43], s[6:7], v[80:81]
	v_fma_f64 v[82:83], v[40:41], s[6:7], v[82:83]
	v_add_f64 v[125:126], v[16:17], v[20:21]
	v_fma_f64 v[54:55], v[54:55], s[6:7], v[8:9]
	v_fma_f64 v[52:53], v[52:53], s[6:7], v[10:11]
	v_add_f64 v[0:1], v[84:85], v[48:49]
	v_add_f64 v[2:3], v[86:87], v[50:51]
	v_fma_f64 v[123:124], v[42:43], s[6:7], v[6:7]
	v_add_f64 v[4:5], v[84:85], -v[48:49]
	v_add_f64 v[6:7], v[86:87], -v[50:51]
	v_add_f64 v[84:85], v[32:33], v[98:99]
	v_add_f64 v[86:87], v[34:35], v[96:97]
	v_fma_f64 v[88:89], v[40:41], s[6:7], v[88:89]
	v_add_f64 v[127:128], v[12:13], v[94:95]
	v_add_f64 v[10:11], v[111:112], v[102:103]
	;; [unrolled: 1-line block ×3, first 2 shown]
	v_add_f64 v[40:41], v[109:110], -v[100:101]
	v_add_f64 v[42:43], v[111:112], -v[102:103]
	v_fma_f64 v[100:101], v[119:120], -0.5, v[28:29]
	v_fma_f64 v[102:103], v[121:122], -0.5, v[30:31]
	v_add_f64 v[109:110], v[34:35], -v[96:97]
	v_add_f64 v[111:112], v[32:33], -v[98:99]
	v_fma_f64 v[62:63], v[62:63], s[14:15], -v[90:91]
	v_fma_f64 v[60:61], v[60:61], s[16:17], -v[106:107]
	v_fma_f64 v[90:91], v[56:57], s[6:7], v[113:114]
	v_fma_f64 v[106:107], v[58:59], s[6:7], v[44:45]
	v_fma_f64 v[113:114], v[46:47], s[8:9], -v[117:118]
	v_add_f64 v[44:45], v[80:81], v[54:55]
	v_add_f64 v[46:47], v[82:83], v[52:53]
	v_add_f64 v[48:49], v[80:81], -v[54:55]
	v_add_f64 v[50:51], v[82:83], -v[52:53]
	;; [unrolled: 1-line block ×4, first 2 shown]
	v_fma_f64 v[84:85], v[84:85], -0.5, v[30:31]
	v_fma_f64 v[86:87], v[86:87], -0.5, v[28:29]
	v_fma_f64 v[104:105], v[104:105], s[4:5], -v[115:116]
	v_add_f64 v[115:116], v[18:19], v[22:23]
	v_add_f64 v[117:118], v[14:15], v[92:93]
	v_add_f64 v[129:130], v[34:35], -v[24:25]
	v_add_f64 v[148:149], v[96:97], -v[36:37]
	v_add_f64 v[150:151], v[32:33], -v[26:27]
	v_add_f64 v[152:153], v[98:99], -v[38:39]
	v_fma_f64 v[158:159], v[109:110], s[16:17], v[102:103]
	v_fma_f64 v[160:161], v[111:112], s[14:15], v[100:101]
	v_add_f64 v[119:120], v[154:155], v[14:15]
	v_add_f64 v[121:122], v[156:157], v[12:13]
	v_add_f64 v[28:29], v[28:29], v[34:35]
	v_add_f64 v[30:31], v[30:31], v[32:33]
	v_add_f64 v[34:35], v[24:25], -v[34:35]
	v_add_f64 v[162:163], v[36:37], -v[96:97]
	;; [unrolled: 1-line block ×4, first 2 shown]
	v_fma_f64 v[100:101], v[111:112], s[16:17], v[100:101]
	v_fma_f64 v[102:103], v[109:110], s[14:15], v[102:103]
	v_fma_f64 v[125:126], v[125:126], -0.5, v[156:157]
	v_fma_f64 v[166:167], v[80:81], s[14:15], v[84:85]
	v_fma_f64 v[168:169], v[82:83], s[16:17], v[86:87]
	;; [unrolled: 1-line block ×4, first 2 shown]
	v_fma_f64 v[115:116], v[115:116], -0.5, v[154:155]
	v_fma_f64 v[117:118], v[117:118], -0.5, v[154:155]
	;; [unrolled: 1-line block ×3, first 2 shown]
	v_add_f64 v[129:130], v[129:130], v[148:149]
	v_add_f64 v[148:149], v[150:151], v[152:153]
	v_fma_f64 v[150:151], v[80:81], s[8:9], v[158:159]
	v_fma_f64 v[152:153], v[82:83], s[4:5], v[160:161]
	v_add_f64 v[154:155], v[12:13], -v[94:95]
	v_add_f64 v[156:157], v[14:15], -v[92:93]
	v_add_f64 v[119:120], v[119:120], v[18:19]
	v_add_f64 v[121:122], v[121:122], v[16:17]
	;; [unrolled: 1-line block ×6, first 2 shown]
	v_add_f64 v[158:159], v[16:17], -v[20:21]
	v_add_f64 v[160:161], v[18:19], -v[22:23]
	v_fma_f64 v[82:83], v[82:83], s[8:9], v[100:101]
	v_fma_f64 v[32:33], v[109:110], s[8:9], v[166:167]
	;; [unrolled: 1-line block ×6, first 2 shown]
	v_add_f64 v[109:110], v[14:15], -v[18:19]
	v_add_f64 v[111:112], v[92:93], -v[22:23]
	;; [unrolled: 1-line block ×4, first 2 shown]
	v_fma_f64 v[150:151], v[148:149], s[6:7], v[150:151]
	v_fma_f64 v[152:153], v[129:130], s[6:7], v[152:153]
	;; [unrolled: 1-line block ×4, first 2 shown]
	v_add_f64 v[119:120], v[119:120], v[22:23]
	v_add_f64 v[121:122], v[121:122], v[20:21]
	v_add_f64 v[14:15], v[18:19], -v[14:15]
	v_add_f64 v[18:19], v[22:23], -v[92:93]
	;; [unrolled: 1-line block ×4, first 2 shown]
	v_add_f64 v[24:25], v[24:25], v[36:37]
	v_add_f64 v[26:27], v[26:27], v[38:39]
	v_fma_f64 v[82:83], v[129:130], s[6:7], v[82:83]
	v_fma_f64 v[20:21], v[30:31], s[6:7], v[32:33]
	;; [unrolled: 1-line block ×12, first 2 shown]
	v_add_f64 v[36:37], v[109:110], v[111:112]
	v_add_f64 v[38:39], v[100:101], v[102:103]
	v_mul_f64 v[100:101], v[150:151], s[4:5]
	v_mul_f64 v[102:103], v[152:153], s[8:9]
	v_fma_f64 v[109:110], v[158:159], s[4:5], v[162:163]
	v_fma_f64 v[111:112], v[160:161], s[8:9], v[164:165]
	v_add_f64 v[14:15], v[14:15], v[18:19]
	v_add_f64 v[12:13], v[12:13], v[16:17]
	;; [unrolled: 1-line block ×4, first 2 shown]
	v_mul_f64 v[129:130], v[82:83], s[18:19]
	v_mul_f64 v[16:17], v[20:21], s[14:15]
	;; [unrolled: 1-line block ×3, first 2 shown]
	v_fma_f64 v[32:33], v[154:155], s[4:5], v[32:33]
	v_fma_f64 v[34:35], v[156:157], s[8:9], v[34:35]
	;; [unrolled: 1-line block ×4, first 2 shown]
	v_mul_f64 v[125:126], v[28:29], s[6:7]
	v_mul_f64 v[127:128], v[30:31], s[6:7]
	v_fma_f64 v[84:85], v[158:159], s[8:9], v[84:85]
	v_fma_f64 v[86:87], v[160:161], s[4:5], v[86:87]
	v_mul_f64 v[148:149], v[80:81], s[18:19]
	v_add_f64 v[24:25], v[24:25], v[96:97]
	v_add_f64 v[26:27], v[26:27], v[98:99]
	;; [unrolled: 1-line block ×6, first 2 shown]
	v_fma_f64 v[96:97], v[152:153], s[18:19], v[100:101]
	v_fma_f64 v[98:99], v[150:151], s[18:19], v[102:103]
	;; [unrolled: 1-line block ×4, first 2 shown]
	v_mul_u32_u24_sdwa v131, v144, v108 dst_sel:DWORD dst_unused:UNUSED_PAD src0_sel:WORD_0 src1_sel:DWORD
	v_fma_f64 v[108:109], v[22:23], s[6:7], v[16:17]
	v_fma_f64 v[110:111], v[20:21], s[6:7], v[18:19]
	;; [unrolled: 1-line block ×6, first 2 shown]
	v_fma_f64 v[125:126], v[30:31], s[14:15], -v[125:126]
	v_fma_f64 v[127:128], v[28:29], s[16:17], -v[127:128]
	v_fma_f64 v[84:85], v[36:37], s[6:7], v[84:85]
	v_fma_f64 v[86:87], v[38:39], s[6:7], v[86:87]
	v_fma_f64 v[80:81], v[80:81], s[4:5], -v[129:130]
	v_fma_f64 v[82:83], v[82:83], s[8:9], -v[148:149]
	v_lshlrev_b32_sdwa v144, v143, v145 dst_sel:DWORD dst_unused:UNUSED_PAD src0_sel:DWORD src1_sel:BYTE_0
	v_add_f64 v[12:13], v[123:124], -v[62:63]
	v_add_f64 v[14:15], v[88:89], -v[60:61]
	;; [unrolled: 1-line block ×4, first 2 shown]
	v_add3_u32 v112, 0, v131, v144
	ds_write_b128 v112, v[0:3]
	ds_write_b128 v112, v[8:11] offset:480
	ds_write_b128 v112, v[44:47] offset:960
	ds_write_b128 v112, v[52:55] offset:1440
	ds_write_b128 v112, v[56:59] offset:1920
	v_add_f64 v[0:1], v[92:93], v[24:25]
	v_add_f64 v[2:3], v[94:95], v[26:27]
	;; [unrolled: 1-line block ×4, first 2 shown]
	v_add_f64 v[8:9], v[92:93], -v[24:25]
	v_add_f64 v[10:11], v[94:95], -v[26:27]
	v_add_f64 v[24:25], v[119:120], v[108:109]
	v_add_f64 v[26:27], v[121:122], v[110:111]
	;; [unrolled: 1-line block ×6, first 2 shown]
	v_lshlrev_b32_sdwa v52, v143, v147 dst_sel:DWORD dst_unused:UNUSED_PAD src0_sel:DWORD src1_sel:WORD_0
	v_mul_u32_u24_e32 v53, 0x12c0, v146
	ds_write_b128 v112, v[4:7] offset:2400
	v_add_f64 v[4:5], v[115:116], -v[125:126]
	v_add_f64 v[6:7], v[117:118], -v[127:128]
	;; [unrolled: 1-line block ×4, first 2 shown]
	ds_write_b128 v112, v[40:43] offset:2880
	ds_write_b128 v112, v[48:51] offset:3360
	v_add3_u32 v48, 0, v53, v52
	v_add_f64 v[44:45], v[119:120], -v[108:109]
	v_add_f64 v[46:47], v[121:122], -v[110:111]
	ds_write_b128 v112, v[12:15] offset:3840
	ds_write_b128 v112, v[16:19] offset:4320
	ds_write_b128 v48, v[0:3]
	v_mul_u32_u24_e32 v0, 9, v64
	v_add_f64 v[40:41], v[84:85], -v[80:81]
	v_add_f64 v[42:43], v[86:87], -v[82:83]
	ds_write_b128 v48, v[20:23] offset:480
	ds_write_b128 v48, v[24:27] offset:960
	;; [unrolled: 1-line block ×4, first 2 shown]
	v_lshlrev_b32_e32 v0, 4, v0
	ds_write_b128 v48, v[8:11] offset:2400
	ds_write_b128 v48, v[36:39] offset:2880
	;; [unrolled: 1-line block ×3, first 2 shown]
	v_add_co_u32 v20, s0, s12, v0
	v_add_co_ci_u32_e64 v21, null, s13, 0, s0
	ds_write_b128 v48, v[4:7] offset:3840
	v_add_co_u32 v24, s0, 0x1000, v20
	v_add_co_ci_u32_e64 v25, s0, 0, v21, s0
	v_add_co_u32 v4, s0, 0x1220, v20
	v_add_co_ci_u32_e64 v5, s0, 0, v21, s0
	ds_write_b128 v48, v[40:43] offset:4320
	s_waitcnt lgkmcnt(0)
	s_barrier
	buffer_gl0_inv
	s_clause 0x4
	global_load_dwordx4 v[0:3], v[24:25], off offset:544
	global_load_dwordx4 v[12:15], v[4:5], off offset:16
	;; [unrolled: 1-line block ×5, first 2 shown]
	v_add_co_u32 v26, s0, 0x1260, v20
	v_add_co_ci_u32_e64 v27, s0, 0, v21, s0
	v_mov_b32_e32 v48, 0
	v_mul_i32_i24_e32 v47, 9, v68
	s_clause 0x3
	global_load_dwordx4 v[32:35], v[26:27], off offset:16
	global_load_dwordx4 v[20:23], v[26:27], off offset:32
	;; [unrolled: 1-line block ×4, first 2 shown]
	v_lshlrev_b64 v[36:37], 4, v[47:48]
	v_add_co_u32 v46, s0, s12, v36
	v_add_co_ci_u32_e64 v47, s0, s13, v37, s0
	v_add_co_u32 v61, s0, 0x1000, v46
	v_add_co_ci_u32_e64 v62, s0, 0, v47, s0
	;; [unrolled: 2-line block ×3, first 2 shown]
	s_clause 0x4
	global_load_dwordx4 v[36:39], v[61:62], off offset:544
	global_load_dwordx4 v[40:43], v[44:45], off offset:16
	;; [unrolled: 1-line block ×5, first 2 shown]
	v_add_co_u32 v44, s0, 0x1260, v46
	v_add_co_ci_u32_e64 v45, s0, 0, v47, s0
	ds_read_b128 v[80:83], v136
	v_mul_i32_i24_e32 v47, 9, v79
	global_load_dwordx4 v[84:87], v[44:45], off offset:16
	ds_read_b128 v[88:91], v139
	ds_read_b128 v[92:95], v135
	ds_read_b128 v[100:103], v132 offset:19200
	ds_read_b128 v[104:107], v132 offset:24000
	;; [unrolled: 1-line block ×3, first 2 shown]
	global_load_dwordx4 v[147:150], v[44:45], off offset:32
	ds_read_b128 v[108:111], v132 offset:28800
	ds_read_b128 v[118:121], v132 offset:20800
	global_load_dwordx4 v[151:154], v[44:45], off offset:48
	ds_read_b128 v[112:115], v132 offset:33600
	ds_read_b128 v[155:158], v132 offset:22400
	;; [unrolled: 1-line block ×3, first 2 shown]
	s_waitcnt vmcnt(16) lgkmcnt(10)
	v_mul_f64 v[96:97], v[82:83], v[2:3]
	v_mul_f64 v[2:3], v[80:81], v[2:3]
	s_waitcnt vmcnt(14) lgkmcnt(8)
	v_mul_f64 v[130:131], v[94:95], v[18:19]
	v_mul_f64 v[18:19], v[92:93], v[18:19]
	v_mul_f64 v[116:117], v[90:91], v[14:15]
	v_mul_f64 v[128:129], v[88:89], v[14:15]
	s_waitcnt vmcnt(13) lgkmcnt(7)
	v_mul_f64 v[159:160], v[102:103], v[6:7]
	v_mul_f64 v[6:7], v[100:101], v[6:7]
	s_waitcnt vmcnt(12) lgkmcnt(6)
	v_mul_f64 v[161:162], v[106:107], v[10:11]
	v_lshlrev_b64 v[14:15], 4, v[47:48]
	s_waitcnt vmcnt(10) lgkmcnt(2)
	v_mul_f64 v[179:180], v[112:113], v[22:23]
	v_add_co_u32 v63, s0, s12, v14
	v_add_co_ci_u32_e64 v199, s0, s13, v15, s0
	v_fma_f64 v[126:127], v[80:81], v[0:1], -v[96:97]
	v_mul_f64 v[96:97], v[104:105], v[10:11]
	v_fma_f64 v[98:99], v[82:83], v[0:1], v[2:3]
	ds_read_b128 v[0:3], v132 offset:43200
	v_fma_f64 v[46:47], v[94:95], v[16:17], v[18:19]
	v_mul_f64 v[18:19], v[110:111], v[34:35]
	v_mul_f64 v[34:35], v[108:109], v[34:35]
	v_fma_f64 v[44:45], v[92:93], v[16:17], -v[130:131]
	ds_read_b128 v[80:83], v132 offset:30400
	ds_read_b128 v[92:95], v132 offset:6400
	v_fma_f64 v[14:15], v[88:89], v[12:13], -v[116:117]
	v_fma_f64 v[10:11], v[90:91], v[12:13], v[128:129]
	v_mul_f64 v[116:117], v[114:115], v[22:23]
	s_waitcnt vmcnt(9) lgkmcnt(3)
	v_mul_f64 v[183:184], v[124:125], v[30:31]
	v_mul_f64 v[185:186], v[122:123], v[30:31]
	v_fma_f64 v[16:17], v[100:101], v[4:5], -v[159:160]
	ds_read_b128 v[88:91], v132 offset:35200
	v_fma_f64 v[12:13], v[102:103], v[4:5], v[6:7]
	ds_read_b128 v[4:7], v132 offset:36800
	v_fma_f64 v[100:101], v[104:105], v[8:9], -v[161:162]
	ds_read_b128 v[102:105], v132 offset:11200
	ds_read_b128 v[159:162], v132 offset:44800
	global_load_dwordx4 v[171:174], v[61:62], off offset:672
	ds_read_b128 v[163:166], v132 offset:16000
	s_waitcnt vmcnt(9) lgkmcnt(7)
	v_mul_f64 v[187:188], v[2:3], v[26:27]
	v_fma_f64 v[128:129], v[106:107], v[8:9], v[96:97]
	v_mul_f64 v[96:97], v[0:1], v[26:27]
	v_add_co_u32 v106, s0, 0x1000, v63
	v_fma_f64 v[22:23], v[108:109], v[32:33], -v[18:19]
	v_fma_f64 v[18:19], v[110:111], v[32:33], v[34:35]
	s_waitcnt vmcnt(8) lgkmcnt(5)
	v_mul_f64 v[32:33], v[94:95], v[38:39]
	v_mul_f64 v[34:35], v[92:93], v[38:39]
	v_add_co_ci_u32_e64 v107, s0, 0, v199, s0
	v_fma_f64 v[130:131], v[112:113], v[20:21], -v[116:117]
	v_fma_f64 v[30:31], v[114:115], v[20:21], v[179:180]
	v_fma_f64 v[26:27], v[122:123], v[28:29], -v[183:184]
	v_fma_f64 v[8:9], v[124:125], v[28:29], v[185:186]
	ds_read_b128 v[183:186], v132 offset:17600
	s_waitcnt vmcnt(7) lgkmcnt(3)
	v_mul_f64 v[38:39], v[104:105], v[42:43]
	v_mul_f64 v[42:43], v[102:103], v[42:43]
	global_load_dwordx4 v[175:178], v[106:107], off offset:544
	ds_read_b128 v[167:170], v132 offset:8000
	ds_read_b128 v[179:182], v132 offset:12800
	v_fma_f64 v[28:29], v[0:1], v[24:25], -v[187:188]
	v_fma_f64 v[20:21], v[2:3], v[24:25], v[96:97]
	v_add_co_u32 v24, s0, 0x1220, v63
	v_add_co_ci_u32_e64 v25, s0, 0, v199, s0
	v_fma_f64 v[112:113], v[92:93], v[36:37], -v[32:33]
	v_fma_f64 v[110:111], v[94:95], v[36:37], v[34:35]
	ds_read_b128 v[0:3], v132 offset:25600
	global_load_dwordx4 v[92:95], v[24:25], off offset:16
	s_waitcnt vmcnt(8) lgkmcnt(4)
	v_mul_f64 v[61:62], v[165:166], v[51:52]
	v_mul_f64 v[51:52], v[163:164], v[51:52]
	s_clause 0x2
	global_load_dwordx4 v[187:190], v[24:25], off offset:32
	global_load_dwordx4 v[191:194], v[24:25], off offset:48
	global_load_dwordx4 v[195:198], v[106:107], off offset:608
	s_waitcnt vmcnt(10)
	v_mul_f64 v[96:97], v[120:121], v[55:56]
	v_fma_f64 v[34:35], v[102:103], v[40:41], -v[38:39]
	v_fma_f64 v[32:33], v[104:105], v[40:41], v[42:43]
	v_add_co_u32 v40, s0, 0x1260, v63
	v_add_co_ci_u32_e64 v41, s0, 0, v199, s0
	v_mul_f64 v[36:37], v[118:119], v[55:56]
	s_waitcnt vmcnt(9) lgkmcnt(0)
	v_mul_f64 v[24:25], v[2:3], v[59:60]
	v_mul_f64 v[38:39], v[0:1], v[59:60]
	v_fma_f64 v[116:117], v[163:164], v[49:50], -v[61:62]
	v_fma_f64 v[114:115], v[165:166], v[49:50], v[51:52]
	ds_read_b128 v[163:166], v132 offset:27200
	s_clause 0x1
	global_load_dwordx4 v[199:202], v[40:41], off offset:16
	global_load_dwordx4 v[203:206], v[40:41], off offset:32
	v_fma_f64 v[104:105], v[118:119], v[53:54], -v[96:97]
	v_fma_f64 v[42:43], v[120:121], v[53:54], v[36:37]
	s_waitcnt vmcnt(10)
	v_mul_f64 v[36:37], v[80:81], v[86:87]
	v_fma_f64 v[118:119], v[0:1], v[57:58], -v[24:25]
	v_fma_f64 v[120:121], v[2:3], v[57:58], v[38:39]
	s_clause 0x1
	global_load_dwordx4 v[207:210], v[40:41], off offset:48
	global_load_dwordx4 v[0:3], v[106:107], off offset:672
	v_mul_f64 v[24:25], v[82:83], v[86:87]
	s_waitcnt vmcnt(11)
	v_mul_f64 v[40:41], v[88:89], v[149:150]
	v_fma_f64 v[106:107], v[82:83], v[84:85], v[36:37]
	ds_read_b128 v[36:39], v132 offset:40000
	v_fma_f64 v[108:109], v[80:81], v[84:85], -v[24:25]
	v_mul_f64 v[24:25], v[90:91], v[149:150]
	v_fma_f64 v[124:125], v[90:91], v[147:148], v[40:41]
	v_fma_f64 v[122:123], v[88:89], v[147:148], -v[24:25]
	ds_read_b128 v[147:150], v132 offset:41600
	s_waitcnt vmcnt(10) lgkmcnt(1)
	v_mul_f64 v[24:25], v[38:39], v[153:154]
	v_mul_f64 v[40:41], v[36:37], v[153:154]
	v_fma_f64 v[36:37], v[36:37], v[151:152], -v[24:25]
	v_fma_f64 v[38:39], v[38:39], v[151:152], v[40:41]
	ds_read_b128 v[151:154], v132
	s_waitcnt vmcnt(9)
	v_mul_f64 v[24:25], v[161:162], v[173:174]
	v_mul_f64 v[40:41], v[159:160], v[173:174]
	v_add_f64 v[173:174], v[10:11], v[8:9]
	s_waitcnt vmcnt(8)
	v_mul_f64 v[51:52], v[167:168], v[177:178]
	v_mul_f64 v[49:50], v[169:170], v[177:178]
	v_fma_f64 v[102:103], v[159:160], v[171:172], -v[24:25]
	v_fma_f64 v[40:41], v[161:162], v[171:172], v[40:41]
	v_add_f64 v[159:160], v[128:129], v[30:31]
	v_add_f64 v[171:172], v[12:13], v[18:19]
	v_add_f64 v[177:178], v[28:29], -v[130:131]
	s_waitcnt vmcnt(7)
	v_mul_f64 v[24:25], v[181:182], v[94:95]
	v_mul_f64 v[57:58], v[179:180], v[94:95]
	s_waitcnt vmcnt(6)
	v_mul_f64 v[61:62], v[183:184], v[189:190]
	s_waitcnt vmcnt(5)
	v_mul_f64 v[80:81], v[157:158], v[193:194]
	v_mul_f64 v[82:83], v[155:156], v[193:194]
	s_waitcnt vmcnt(4)
	v_mul_f64 v[84:85], v[165:166], v[197:198]
	v_mul_f64 v[88:89], v[163:164], v[197:198]
	;; [unrolled: 1-line block ×3, first 2 shown]
	v_fma_f64 v[53:54], v[169:170], v[175:176], v[51:52]
	v_fma_f64 v[55:56], v[167:168], v[175:176], -v[49:50]
	v_add_f64 v[169:170], v[126:127], v[44:45]
	v_add_f64 v[167:168], v[14:15], v[26:27]
	s_waitcnt lgkmcnt(0)
	v_add_f64 v[175:176], v[151:152], v[14:15]
	v_fma_f64 v[51:52], v[179:180], v[92:93], -v[24:25]
	v_fma_f64 v[49:50], v[181:182], v[92:93], v[57:58]
	v_fma_f64 v[57:58], v[185:186], v[187:188], v[61:62]
	s_waitcnt vmcnt(3)
	v_mul_f64 v[24:25], v[145:146], v[201:202]
	v_mul_f64 v[90:91], v[143:144], v[201:202]
	s_waitcnt vmcnt(2)
	v_mul_f64 v[92:93], v[6:7], v[205:206]
	v_mul_f64 v[94:95], v[4:5], v[205:206]
	v_fma_f64 v[80:81], v[155:156], v[191:192], -v[80:81]
	v_fma_f64 v[61:62], v[157:158], v[191:192], v[82:83]
	v_add_f64 v[157:158], v[100:101], v[130:131]
	v_fma_f64 v[86:87], v[163:164], v[195:196], -v[84:85]
	v_add_f64 v[163:164], v[44:45], v[28:29]
	v_fma_f64 v[88:89], v[165:166], v[195:196], v[88:89]
	v_add_f64 v[165:166], v[16:17], v[22:23]
	v_fma_f64 v[59:60], v[183:184], v[187:188], -v[59:60]
	s_waitcnt vmcnt(1)
	v_mul_f64 v[155:156], v[149:150], v[209:210]
	v_mul_f64 v[161:162], v[147:148], v[209:210]
	v_fma_f64 v[84:85], v[143:144], v[199:200], -v[24:25]
	v_add_f64 v[24:25], v[46:47], v[20:21]
	v_fma_f64 v[82:83], v[145:146], v[199:200], v[90:91]
	v_fma_f64 v[96:97], v[4:5], v[203:204], -v[92:93]
	v_fma_f64 v[94:95], v[6:7], v[203:204], v[94:95]
	v_add_f64 v[4:5], v[98:99], v[46:47]
	v_fma_f64 v[6:7], v[159:160], -0.5, v[98:99]
	v_add_f64 v[159:160], v[44:45], -v[28:29]
	ds_read_b128 v[143:146], v132 offset:46400
	v_fma_f64 v[90:91], v[147:148], v[207:208], -v[155:156]
	v_fma_f64 v[147:148], v[157:158], -0.5, v[126:127]
	v_add_f64 v[155:156], v[46:47], -v[20:21]
	v_fma_f64 v[92:93], v[149:150], v[207:208], v[161:162]
	v_fma_f64 v[126:127], v[163:164], -0.5, v[126:127]
	v_add_f64 v[149:150], v[128:129], -v[30:31]
	v_add_f64 v[157:158], v[46:47], -v[128:129]
	;; [unrolled: 1-line block ×3, first 2 shown]
	v_add_f64 v[163:164], v[169:170], v[100:101]
	v_add_f64 v[169:170], v[100:101], -v[130:131]
	v_fma_f64 v[24:25], v[24:25], -0.5, v[98:99]
	v_fma_f64 v[98:99], v[165:166], -0.5, v[151:152]
	;; [unrolled: 1-line block ×5, first 2 shown]
	v_add_f64 v[153:154], v[153:154], v[10:11]
	v_add_f64 v[171:172], v[175:176], v[16:17]
	;; [unrolled: 1-line block ×3, first 2 shown]
	v_fma_f64 v[173:174], v[159:160], s[16:17], v[6:7]
	v_add_f64 v[175:176], v[44:45], -v[100:101]
	v_add_f64 v[46:47], v[128:129], -v[46:47]
	;; [unrolled: 1-line block ×4, first 2 shown]
	v_fma_f64 v[6:7], v[159:160], s[14:15], v[6:7]
	v_fma_f64 v[128:129], v[155:156], s[14:15], v[147:148]
	;; [unrolled: 1-line block ×5, first 2 shown]
	v_add_f64 v[157:158], v[157:158], v[161:162]
	v_add_f64 v[161:162], v[30:31], -v[20:21]
	v_add_f64 v[130:131], v[163:164], v[130:131]
	v_fma_f64 v[163:164], v[169:170], s[14:15], v[24:25]
	v_fma_f64 v[181:182], v[169:170], s[16:17], v[24:25]
	v_add_f64 v[24:25], v[12:13], -v[18:19]
	v_add_f64 v[153:154], v[153:154], v[12:13]
	v_add_f64 v[171:172], v[171:172], v[22:23]
	;; [unrolled: 1-line block ×3, first 2 shown]
	v_fma_f64 v[173:174], v[169:170], s[8:9], v[173:174]
	v_add_f64 v[175:176], v[175:176], v[177:178]
	v_add_f64 v[177:178], v[10:11], -v[8:9]
	v_add_f64 v[30:31], v[14:15], -v[16:17]
	v_add_f64 v[44:45], v[44:45], v[100:101]
	v_fma_f64 v[6:7], v[169:170], s[4:5], v[6:7]
	v_fma_f64 v[128:129], v[149:150], s[4:5], v[128:129]
	;; [unrolled: 1-line block ×4, first 2 shown]
	v_add_f64 v[46:47], v[46:47], v[161:162]
	v_add_f64 v[161:162], v[14:15], -v[26:27]
	v_fma_f64 v[163:164], v[159:160], s[8:9], v[163:164]
	v_add_f64 v[130:131], v[130:131], v[28:29]
	v_fma_f64 v[179:180], v[159:160], s[4:5], v[181:182]
	v_add_f64 v[28:29], v[16:17], -v[22:23]
	v_add_f64 v[14:15], v[16:17], -v[14:15]
	;; [unrolled: 1-line block ×3, first 2 shown]
	v_add_f64 v[153:154], v[153:154], v[18:19]
	v_add_f64 v[171:172], v[171:172], v[26:27]
	v_fma_f64 v[173:174], v[157:158], s[6:7], v[173:174]
	v_add_f64 v[22:23], v[22:23], -v[26:27]
	v_add_f64 v[26:27], v[10:11], -v[12:13]
	;; [unrolled: 1-line block ×5, first 2 shown]
	v_fma_f64 v[181:182], v[175:176], s[6:7], v[128:129]
	v_fma_f64 v[128:129], v[177:178], s[14:15], v[98:99]
	;; [unrolled: 1-line block ×6, first 2 shown]
	v_add_f64 v[20:21], v[4:5], v[20:21]
	v_fma_f64 v[155:156], v[161:162], s[16:17], v[165:166]
	v_fma_f64 v[163:164], v[46:47], s[6:7], v[163:164]
	;; [unrolled: 1-line block ×6, first 2 shown]
	v_add_f64 v[126:127], v[30:31], v[16:17]
	v_add_f64 v[8:9], v[153:154], v[8:9]
	v_mul_f64 v[4:5], v[173:174], s[4:5]
	v_add_f64 v[14:15], v[14:15], v[22:23]
	v_add_f64 v[10:11], v[10:11], v[18:19]
	v_mul_f64 v[16:17], v[181:182], s[8:9]
	v_fma_f64 v[30:31], v[24:25], s[4:5], v[128:129]
	v_add_f64 v[128:129], v[26:27], v[12:13]
	v_mul_f64 v[153:154], v[100:101], s[16:17]
	v_fma_f64 v[18:19], v[149:150], s[8:9], v[147:148]
	ds_read_b128 v[147:150], v69
	v_fma_f64 v[22:23], v[177:178], s[4:5], v[159:160]
	v_fma_f64 v[12:13], v[28:29], s[8:9], v[155:156]
	v_mul_f64 v[26:27], v[163:164], s[14:15]
	s_waitcnt vmcnt(0) lgkmcnt(1)
	v_mul_f64 v[159:160], v[145:146], v[2:3]
	v_mul_f64 v[2:3], v[143:144], v[2:3]
	v_fma_f64 v[155:156], v[161:162], s[8:9], v[179:180]
	v_fma_f64 v[151:152], v[177:178], s[8:9], v[151:152]
	;; [unrolled: 1-line block ×3, first 2 shown]
	v_mul_f64 v[169:170], v[44:45], s[6:7]
	v_mul_f64 v[179:180], v[46:47], s[6:7]
	v_fma_f64 v[181:182], v[181:182], s[18:19], v[4:5]
	v_fma_f64 v[161:162], v[161:162], s[14:15], v[165:166]
	v_add_f64 v[4:5], v[171:172], v[130:131]
	v_add_f64 v[6:7], v[8:9], v[20:21]
	v_fma_f64 v[173:174], v[173:174], s[18:19], v[16:17]
	v_fma_f64 v[30:31], v[126:127], s[6:7], v[30:31]
	;; [unrolled: 1-line block ×4, first 2 shown]
	v_add_f64 v[175:176], v[36:37], -v[108:109]
	v_fma_f64 v[22:23], v[14:15], s[6:7], v[22:23]
	v_fma_f64 v[183:184], v[128:129], s[6:7], v[12:13]
	;; [unrolled: 1-line block ×4, first 2 shown]
	v_fma_f64 v[98:99], v[143:144], v[0:1], -v[159:160]
	v_fma_f64 v[155:156], v[10:11], s[6:7], v[155:156]
	v_fma_f64 v[100:101], v[145:146], v[0:1], v[2:3]
	;; [unrolled: 1-line block ×4, first 2 shown]
	v_fma_f64 v[145:146], v[46:47], s[14:15], -v[169:170]
	v_fma_f64 v[151:152], v[44:45], s[16:17], -v[179:180]
	v_add_f64 v[0:1], v[171:172], -v[130:131]
	v_add_f64 v[2:3], v[8:9], -v[20:21]
	v_fma_f64 v[161:162], v[28:29], s[4:5], v[161:162]
	v_mul_f64 v[167:168], v[157:158], s[18:19]
	v_add_f64 v[169:170], v[104:105], v[108:109]
	v_add_f64 v[171:172], v[34:35], v[36:37]
	v_add_f64 v[16:17], v[30:31], v[181:182]
	v_add_f64 v[12:13], v[30:31], -v[181:182]
	s_waitcnt lgkmcnt(0)
	v_add_f64 v[130:131], v[147:148], v[34:35]
	v_mul_f64 v[165:166], v[163:164], s[18:19]
	v_add_f64 v[177:178], v[110:111], v[114:115]
	v_add_f64 v[179:180], v[120:121], v[124:125]
	;; [unrolled: 1-line block ×3, first 2 shown]
	v_add_f64 v[14:15], v[183:184], -v[173:174]
	v_fma_f64 v[159:160], v[24:25], s[8:9], v[26:27]
	v_add_f64 v[173:174], v[42:43], v[106:107]
	v_add_f64 v[24:25], v[22:23], v[185:186]
	;; [unrolled: 1-line block ×3, first 2 shown]
	v_add_f64 v[20:21], v[22:23], -v[185:186]
	v_add_f64 v[22:23], v[155:156], -v[153:154]
	v_add_f64 v[28:29], v[143:144], v[145:146]
	v_add_f64 v[155:156], v[34:35], -v[104:105]
	v_add_f64 v[30:31], v[10:11], v[151:152]
	v_add_f64 v[8:9], v[143:144], -v[145:146]
	v_add_f64 v[10:11], v[10:11], -v[151:152]
	;; [unrolled: 1-line block ×4, first 2 shown]
	v_add_f64 v[143:144], v[112:113], v[116:117]
	v_fma_f64 v[128:129], v[128:129], s[6:7], v[161:162]
	v_fma_f64 v[161:162], v[169:170], -0.5, v[147:148]
	v_fma_f64 v[147:148], v[171:172], -0.5, v[147:148]
	v_fma_f64 v[157:158], v[157:158], s[4:5], -v[165:166]
	v_add_f64 v[165:166], v[116:117], -v[118:119]
	v_add_f64 v[169:170], v[114:115], -v[120:121]
	;; [unrolled: 1-line block ×3, first 2 shown]
	v_add_f64 v[153:154], v[32:33], v[38:39]
	v_fma_f64 v[126:127], v[126:127], s[6:7], v[159:160]
	v_fma_f64 v[159:160], v[163:164], s[8:9], -v[167:168]
	v_fma_f64 v[163:164], v[173:174], -0.5, v[149:150]
	v_add_f64 v[167:168], v[102:103], -v[122:123]
	v_add_f64 v[173:174], v[116:117], v[102:103]
	v_add_f64 v[177:178], v[177:178], v[120:121]
	;; [unrolled: 1-line block ×5, first 2 shown]
	ds_read_b128 v[44:47], v142
	s_waitcnt lgkmcnt(0)
	s_barrier
	v_add_f64 v[145:146], v[145:146], v[151:152]
	v_add_f64 v[151:152], v[114:115], v[40:41]
	v_add_f64 v[143:144], v[143:144], v[118:119]
	buffer_gl0_inv
	ds_write_b128 v132, v[4:7]
	v_fma_f64 v[153:154], v[153:154], -0.5, v[149:150]
	v_add_f64 v[149:150], v[149:150], v[32:33]
	v_add_f64 v[165:166], v[165:166], v[167:168]
	;; [unrolled: 1-line block ×3, first 2 shown]
	v_add_f64 v[169:170], v[120:121], -v[124:125]
	v_fma_f64 v[171:172], v[173:174], -0.5, v[112:113]
	v_fma_f64 v[173:174], v[179:180], -0.5, v[110:111]
	;; [unrolled: 1-line block ×3, first 2 shown]
	v_add_f64 v[175:176], v[116:117], -v[102:103]
	v_add_f64 v[116:117], v[118:119], -v[116:117]
	;; [unrolled: 1-line block ×4, first 2 shown]
	v_fma_f64 v[110:111], v[151:152], -0.5, v[110:111]
	v_add_f64 v[151:152], v[124:125], -v[40:41]
	v_add_f64 v[114:115], v[114:115], -v[40:41]
	;; [unrolled: 1-line block ×3, first 2 shown]
	v_add_f64 v[122:123], v[143:144], v[122:123]
	v_add_f64 v[124:125], v[177:178], v[124:125]
	;; [unrolled: 1-line block ×4, first 2 shown]
	v_fma_f64 v[143:144], v[169:170], s[16:17], v[171:172]
	v_fma_f64 v[171:172], v[169:170], s[14:15], v[171:172]
	;; [unrolled: 1-line block ×4, first 2 shown]
	v_add_f64 v[116:117], v[116:117], v[179:180]
	v_add_f64 v[120:121], v[120:121], v[151:152]
	v_fma_f64 v[151:152], v[114:115], s[14:15], v[112:113]
	v_fma_f64 v[179:180], v[118:119], s[14:15], v[110:111]
	;; [unrolled: 1-line block ×4, first 2 shown]
	v_add_f64 v[102:103], v[122:123], v[102:103]
	v_add_f64 v[124:125], v[124:125], v[40:41]
	;; [unrolled: 1-line block ×5, first 2 shown]
	v_fma_f64 v[143:144], v[114:115], s[4:5], v[143:144]
	v_fma_f64 v[114:115], v[114:115], s[8:9], v[171:172]
	;; [unrolled: 1-line block ×6, first 2 shown]
	v_add_f64 v[179:180], v[32:33], -v[38:39]
	v_fma_f64 v[110:111], v[175:176], s[4:5], v[110:111]
	v_add_f64 v[175:176], v[34:35], -v[36:37]
	v_fma_f64 v[112:113], v[169:170], s[8:9], v[112:113]
	v_add_f64 v[169:170], v[42:43], -v[106:107]
	v_add_f64 v[34:35], v[104:105], -v[34:35]
	v_add_f64 v[104:105], v[104:105], -v[108:109]
	v_add_f64 v[108:109], v[108:109], -v[36:37]
	v_add_f64 v[32:33], v[42:43], -v[32:33]
	v_add_f64 v[106:107], v[106:107], -v[38:39]
	v_add_f64 v[149:150], v[149:150], v[38:39]
	v_fma_f64 v[143:144], v[116:117], s[6:7], v[143:144]
	v_fma_f64 v[114:115], v[116:117], s[6:7], v[114:115]
	v_add_f64 v[36:37], v[130:131], v[102:103]
	v_fma_f64 v[171:172], v[167:168], s[6:7], v[171:172]
	v_fma_f64 v[118:119], v[167:168], s[6:7], v[118:119]
	v_add_f64 v[102:103], v[130:131], -v[102:103]
	v_add_f64 v[130:131], v[80:81], v[84:85]
	v_fma_f64 v[151:152], v[165:166], s[6:7], v[151:152]
	v_fma_f64 v[177:178], v[120:121], s[6:7], v[177:178]
	;; [unrolled: 1-line block ×12, first 2 shown]
	v_add_f64 v[108:109], v[34:35], v[108:109]
	v_add_f64 v[106:107], v[32:33], v[106:107]
	v_mul_f64 v[34:35], v[143:144], s[16:17]
	v_mul_f64 v[165:166], v[171:172], s[4:5]
	v_fma_f64 v[130:131], v[130:131], -0.5, v[44:45]
	v_mul_f64 v[167:168], v[151:152], s[8:9]
	v_mul_f64 v[32:33], v[177:178], s[14:15]
	v_fma_f64 v[173:174], v[169:170], s[4:5], v[173:174]
	v_fma_f64 v[42:43], v[104:105], s[8:9], v[42:43]
	v_fma_f64 v[116:117], v[179:180], s[4:5], v[116:117]
	v_fma_f64 v[38:39], v[179:180], s[8:9], v[147:148]
	v_fma_f64 v[120:121], v[175:176], s[8:9], v[120:121]
	v_fma_f64 v[122:123], v[175:176], s[4:5], v[153:154]
	v_mul_f64 v[153:154], v[110:111], s[6:7]
	v_mul_f64 v[147:148], v[114:115], s[6:7]
	v_fma_f64 v[161:162], v[169:170], s[8:9], v[161:162]
	v_fma_f64 v[104:105], v[104:105], s[4:5], v[163:164]
	v_mul_f64 v[163:164], v[112:113], s[18:19]
	v_mul_f64 v[169:170], v[118:119], s[18:19]
	v_fma_f64 v[151:152], v[151:152], s[18:19], v[165:166]
	v_add_f64 v[179:180], v[88:89], -v[94:95]
	v_fma_f64 v[165:166], v[171:172], s[18:19], v[167:168]
	v_fma_f64 v[143:144], v[143:144], s[6:7], v[32:33]
	;; [unrolled: 1-line block ×5, first 2 shown]
	v_add_f64 v[42:43], v[128:129], v[159:160]
	v_fma_f64 v[175:176], v[108:109], s[6:7], v[116:117]
	v_add_f64 v[34:35], v[128:129], -v[159:160]
	v_fma_f64 v[120:121], v[106:107], s[6:7], v[120:121]
	v_fma_f64 v[128:129], v[106:107], s[6:7], v[122:123]
	v_fma_f64 v[153:154], v[114:115], s[16:17], -v[153:154]
	v_add_f64 v[32:33], v[126:127], -v[157:158]
	v_fma_f64 v[126:127], v[108:109], s[6:7], v[38:39]
	v_fma_f64 v[147:148], v[110:111], s[14:15], -v[147:148]
	v_add_f64 v[38:39], v[149:150], v[124:125]
	v_add_f64 v[157:158], v[55:56], v[59:60]
	v_fma_f64 v[155:156], v[155:156], s[6:7], v[161:162]
	v_fma_f64 v[159:160], v[145:146], s[6:7], v[104:105]
	v_fma_f64 v[161:162], v[118:119], s[4:5], -v[163:164]
	v_fma_f64 v[163:164], v[112:113], s[8:9], -v[169:170]
	v_add_f64 v[104:105], v[149:150], -v[124:125]
	v_add_f64 v[169:170], v[86:87], v[96:97]
	v_add_f64 v[177:178], v[59:60], -v[98:99]
	ds_write_b128 v132, v[16:19] offset:4800
	ds_write_b128 v132, v[24:27] offset:9600
	;; [unrolled: 1-line block ×7, first 2 shown]
	v_add_f64 v[106:107], v[167:168], v[151:152]
	v_add_f64 v[108:109], v[171:172], v[165:166]
	v_add_f64 v[110:111], v[167:168], -v[151:152]
	v_add_f64 v[112:113], v[171:172], -v[165:166]
	v_add_f64 v[165:166], v[61:62], v[82:83]
	v_add_f64 v[167:168], v[49:50], v[92:93]
	;; [unrolled: 1-line block ×3, first 2 shown]
	v_add_f64 v[118:119], v[175:176], -v[143:144]
	v_add_f64 v[124:125], v[128:129], v[153:154]
	v_add_f64 v[171:172], v[88:89], v[94:95]
	;; [unrolled: 1-line block ×3, first 2 shown]
	v_add_f64 v[128:129], v[128:129], -v[153:154]
	v_add_f64 v[153:154], v[57:58], v[100:101]
	v_add_f64 v[116:117], v[120:121], v[173:174]
	v_add_f64 v[120:121], v[120:121], -v[173:174]
	v_add_f64 v[122:123], v[126:127], v[147:148]
	v_add_f64 v[173:174], v[53:54], v[57:58]
	;; [unrolled: 1-line block ×3, first 2 shown]
	v_add_f64 v[126:127], v[126:127], -v[147:148]
	v_add_f64 v[143:144], v[155:156], v[161:162]
	v_add_f64 v[145:146], v[159:160], v[163:164]
	v_add_f64 v[147:148], v[155:156], -v[161:162]
	v_add_f64 v[149:150], v[159:160], -v[163:164]
	;; [unrolled: 1-line block ×4, first 2 shown]
	v_fma_f64 v[169:170], v[169:170], -0.5, v[55:56]
	v_fma_f64 v[155:156], v[165:166], -0.5, v[46:47]
	v_fma_f64 v[159:160], v[167:168], -0.5, v[46:47]
	v_add_f64 v[165:166], v[57:58], -v[88:89]
	v_add_f64 v[167:168], v[100:101], -v[94:95]
	;; [unrolled: 1-line block ×3, first 2 shown]
	v_fma_f64 v[171:172], v[171:172], -0.5, v[53:54]
	v_fma_f64 v[55:56], v[175:176], -0.5, v[55:56]
	v_add_f64 v[175:176], v[57:58], -v[100:101]
	v_fma_f64 v[53:54], v[153:154], -0.5, v[53:54]
	v_add_f64 v[153:154], v[96:97], -v[98:99]
	v_add_f64 v[86:87], v[86:87], -v[96:97]
	v_add_f64 v[151:152], v[51:52], v[90:91]
	v_add_f64 v[173:174], v[173:174], v[88:89]
	;; [unrolled: 1-line block ×3, first 2 shown]
	v_add_f64 v[57:58], v[88:89], -v[57:58]
	v_add_f64 v[88:89], v[94:95], -v[100:101]
	v_add_f64 v[46:47], v[46:47], v[49:50]
	v_add_f64 v[157:158], v[161:162], v[163:164]
	;; [unrolled: 1-line block ×3, first 2 shown]
	v_fma_f64 v[163:164], v[177:178], s[16:17], v[171:172]
	v_fma_f64 v[167:168], v[179:180], s[16:17], v[55:56]
	;; [unrolled: 1-line block ×4, first 2 shown]
	v_add_f64 v[59:60], v[59:60], v[153:154]
	v_fma_f64 v[153:154], v[86:87], s[14:15], v[53:54]
	v_fma_f64 v[53:54], v[86:87], s[16:17], v[53:54]
	v_fma_f64 v[151:152], v[151:152], -0.5, v[44:45]
	v_add_f64 v[44:45], v[44:45], v[51:52]
	v_fma_f64 v[169:170], v[175:176], s[16:17], v[169:170]
	v_fma_f64 v[171:172], v[177:178], s[14:15], v[171:172]
	v_add_f64 v[57:58], v[57:58], v[88:89]
	v_add_f64 v[46:47], v[46:47], v[61:62]
	;; [unrolled: 1-line block ×3, first 2 shown]
	v_add_f64 v[173:174], v[51:52], -v[80:81]
	v_fma_f64 v[88:89], v[86:87], s[8:9], v[163:164]
	v_fma_f64 v[163:164], v[179:180], s[4:5], v[165:166]
	;; [unrolled: 1-line block ×4, first 2 shown]
	v_add_f64 v[167:168], v[49:50], -v[92:93]
	v_fma_f64 v[153:154], v[177:178], s[8:9], v[153:154]
	v_fma_f64 v[53:54], v[177:178], s[4:5], v[53:54]
	v_add_f64 v[175:176], v[51:52], -v[90:91]
	v_add_f64 v[44:45], v[44:45], v[80:81]
	v_fma_f64 v[169:170], v[179:180], s[8:9], v[169:170]
	v_add_f64 v[177:178], v[61:62], -v[82:83]
	v_fma_f64 v[86:87], v[86:87], s[4:5], v[171:172]
	v_add_f64 v[171:172], v[80:81], -v[84:85]
	v_add_f64 v[51:52], v[80:81], -v[51:52]
	v_add_f64 v[80:81], v[90:91], -v[84:85]
	v_add_f64 v[179:180], v[49:50], -v[61:62]
	v_add_f64 v[49:50], v[61:62], -v[49:50]
	v_add_f64 v[61:62], v[92:93], -v[82:83]
	v_add_f64 v[46:47], v[46:47], v[82:83]
	v_add_f64 v[82:83], v[82:83], -v[92:93]
	v_fma_f64 v[88:89], v[161:162], s[6:7], v[88:89]
	v_fma_f64 v[163:164], v[157:158], s[6:7], v[163:164]
	;; [unrolled: 1-line block ×8, first 2 shown]
	v_add_f64 v[44:45], v[44:45], v[84:85]
	v_add_f64 v[84:85], v[84:85], -v[90:91]
	v_fma_f64 v[157:158], v[157:158], s[6:7], v[169:170]
	v_fma_f64 v[169:170], v[177:178], s[16:17], v[151:152]
	;; [unrolled: 1-line block ×8, first 2 shown]
	v_add_f64 v[80:81], v[173:174], v[80:81]
	v_add_f64 v[61:62], v[179:180], v[61:62]
	;; [unrolled: 1-line block ×3, first 2 shown]
	v_mul_f64 v[173:174], v[88:89], s[4:5]
	v_add_f64 v[6:7], v[46:47], v[92:93]
	v_mul_f64 v[179:180], v[163:164], s[8:9]
	v_add_f64 v[46:47], v[94:95], v[100:101]
	v_fma_f64 v[59:60], v[177:178], s[4:5], v[59:60]
	v_mul_f64 v[82:83], v[153:154], s[14:15]
	v_fma_f64 v[57:58], v[171:172], s[8:9], v[57:58]
	v_add_f64 v[4:5], v[44:45], v[90:91]
	v_add_f64 v[51:52], v[51:52], v[84:85]
	v_mul_f64 v[84:85], v[165:166], s[16:17]
	v_fma_f64 v[169:170], v[167:168], s[4:5], v[169:170]
	v_add_f64 v[44:45], v[96:97], v[98:99]
	v_fma_f64 v[161:162], v[175:176], s[8:9], v[161:162]
	v_fma_f64 v[151:152], v[167:168], s[8:9], v[151:152]
	;; [unrolled: 1-line block ×3, first 2 shown]
	v_mul_f64 v[167:168], v[55:56], s[6:7]
	v_mul_f64 v[175:176], v[53:54], s[6:7]
	v_fma_f64 v[130:131], v[177:178], s[8:9], v[130:131]
	v_fma_f64 v[155:156], v[171:172], s[4:5], v[155:156]
	v_mul_f64 v[171:172], v[157:158], s[18:19]
	v_mul_f64 v[177:178], v[86:87], s[18:19]
	v_fma_f64 v[90:91], v[163:164], s[18:19], v[173:174]
	v_fma_f64 v[88:89], v[88:89], s[18:19], v[179:180]
	v_add_f64 v[2:3], v[6:7], v[46:47]
	v_add_f64 v[6:7], v[6:7], -v[46:47]
	v_fma_f64 v[59:60], v[80:81], s[6:7], v[59:60]
	v_fma_f64 v[82:83], v[165:166], s[6:7], v[82:83]
	;; [unrolled: 1-line block ×5, first 2 shown]
	v_add_f64 v[0:1], v[4:5], v[44:45]
	v_fma_f64 v[94:95], v[49:50], s[6:7], v[161:162]
	v_fma_f64 v[51:52], v[51:52], s[6:7], v[151:152]
	;; [unrolled: 1-line block ×3, first 2 shown]
	v_fma_f64 v[53:54], v[53:54], s[14:15], -v[167:168]
	v_fma_f64 v[55:56], v[55:56], s[16:17], -v[175:176]
	v_fma_f64 v[80:81], v[80:81], s[6:7], v[130:131]
	v_fma_f64 v[61:62], v[61:62], s[6:7], v[155:156]
	v_fma_f64 v[86:87], v[86:87], s[4:5], -v[171:172]
	v_fma_f64 v[96:97], v[157:158], s[8:9], -v[177:178]
	v_add_f64 v[4:5], v[4:5], -v[44:45]
	s_addc_u32 s4, s13, 0
	s_mov_b32 s5, exec_lo
	v_add_f64 v[12:13], v[59:60], v[90:91]
	v_add_f64 v[16:17], v[59:60], -v[90:91]
	v_add_f64 v[14:15], v[57:58], v[88:89]
	v_add_f64 v[18:19], v[57:58], -v[88:89]
	;; [unrolled: 2-line block ×4, first 2 shown]
	v_add_f64 v[28:29], v[51:52], v[53:54]
	v_add_f64 v[30:31], v[49:50], v[55:56]
	v_add_f64 v[44:45], v[51:52], -v[53:54]
	v_add_f64 v[46:47], v[49:50], -v[55:56]
	v_add_f64 v[40:41], v[80:81], v[86:87]
	v_add_f64 v[42:43], v[61:62], v[96:97]
	v_add_f64 v[49:50], v[80:81], -v[86:87]
	v_add_f64 v[51:52], v[61:62], -v[96:97]
	ds_write_b128 v132, v[8:11] offset:38400
	ds_write_b128 v132, v[32:35] offset:43200
	ds_write_b128 v69, v[36:39]
	ds_write_b128 v69, v[106:109] offset:4800
	ds_write_b128 v69, v[114:117] offset:9600
	;; [unrolled: 1-line block ×9, first 2 shown]
	ds_write_b128 v142, v[0:3]
	ds_write_b128 v142, v[12:15] offset:4800
	ds_write_b128 v142, v[20:23] offset:9600
	;; [unrolled: 1-line block ×9, first 2 shown]
	s_waitcnt lgkmcnt(0)
	s_barrier
	buffer_gl0_inv
	ds_read_b128 v[4:7], v132
	v_sub_nc_u32_e32 v10, 0, v65
                                        ; implicit-def: $vgpr2_vgpr3
                                        ; implicit-def: $vgpr8_vgpr9
	v_cmpx_ne_u32_e32 0, v64
	s_xor_b32 s5, exec_lo, s5
	s_cbranch_execz .LBB0_15
; %bb.14:
	v_mov_b32_e32 v65, v48
	v_lshlrev_b64 v[0:1], 4, v[64:65]
	v_add_co_u32 v0, s0, s1, v0
	v_add_co_ci_u32_e64 v1, s0, s4, v1, s0
	global_load_dwordx4 v[11:14], v[0:1], off
	ds_read_b128 v[0:3], v10 offset:48000
	s_waitcnt lgkmcnt(0)
	v_add_f64 v[8:9], v[4:5], -v[0:1]
	v_add_f64 v[15:16], v[6:7], v[2:3]
	v_add_f64 v[2:3], v[6:7], -v[2:3]
	v_add_f64 v[0:1], v[4:5], v[0:1]
	v_mul_f64 v[6:7], v[8:9], 0.5
	v_mul_f64 v[4:5], v[15:16], 0.5
	;; [unrolled: 1-line block ×3, first 2 shown]
	s_waitcnt vmcnt(0)
	v_mul_f64 v[8:9], v[6:7], v[13:14]
	v_fma_f64 v[15:16], v[4:5], v[13:14], v[2:3]
	v_fma_f64 v[2:3], v[4:5], v[13:14], -v[2:3]
	v_fma_f64 v[17:18], v[0:1], 0.5, v[8:9]
	v_fma_f64 v[0:1], v[0:1], 0.5, -v[8:9]
	v_fma_f64 v[8:9], -v[11:12], v[6:7], v[15:16]
	v_fma_f64 v[2:3], -v[11:12], v[6:7], v[2:3]
	v_fma_f64 v[13:14], v[4:5], v[11:12], v[17:18]
	v_fma_f64 v[0:1], -v[4:5], v[11:12], v[0:1]
                                        ; implicit-def: $vgpr4_vgpr5
	ds_write_b64 v132, v[13:14]
.LBB0_15:
	s_or_saveexec_b32 s0, s5
	v_mul_i32_i24_e32 v12, 0xffffff70, v68
	v_mul_i32_i24_e32 v11, 0xffffff70, v79
	s_xor_b32 exec_lo, exec_lo, s0
	s_cbranch_execz .LBB0_17
; %bb.16:
	v_mov_b32_e32 v17, 0
	s_waitcnt lgkmcnt(0)
	v_add_f64 v[15:16], v[4:5], v[6:7]
	v_add_f64 v[0:1], v[4:5], -v[6:7]
	v_mov_b32_e32 v8, 0
	v_mov_b32_e32 v9, 0
	ds_read_b64 v[13:14], v17 offset:24008
	v_mov_b32_e32 v2, v8
	v_mov_b32_e32 v3, v9
	s_waitcnt lgkmcnt(0)
	v_xor_b32_e32 v14, 0x80000000, v14
	ds_write_b64 v132, v[15:16]
	ds_write_b64 v17, v[13:14] offset:24008
.LBB0_17:
	s_or_b32 exec_lo, exec_lo, s0
	v_mov_b32_e32 v69, 0
	ds_write_b64 v132, v[8:9] offset:8
	v_add_nc_u32_e32 v12, v133, v12
	ds_write_b128 v10, v[0:3] offset:48000
	s_waitcnt lgkmcnt(2)
	v_lshlrev_b64 v[4:5], 4, v[68:69]
	v_mov_b32_e32 v80, v69
	v_add_nc_u32_e32 v68, 0x3e8, v64
	v_lshlrev_b64 v[13:14], 4, v[79:80]
	v_add_co_u32 v4, s0, s1, v4
	v_add_co_ci_u32_e64 v5, s0, s4, v5, s0
	v_mov_b32_e32 v79, v69
	v_add_co_u32 v13, s0, s1, v13
	global_load_dwordx4 v[4:7], v[4:5], off
	v_add_co_ci_u32_e64 v14, s0, s4, v14, s0
	v_lshlrev_b64 v[8:9], 4, v[78:79]
	v_mov_b32_e32 v78, v69
	global_load_dwordx4 v[13:16], v[13:14], off
	ds_read_b128 v[0:3], v12
	ds_read_b128 v[17:20], v10 offset:46400
	v_add_co_u32 v8, s0, s1, v8
	v_add_co_ci_u32_e64 v9, s0, s4, v9, s0
	global_load_dwordx4 v[21:24], v[8:9], off
	s_waitcnt lgkmcnt(0)
	v_add_f64 v[8:9], v[0:1], -v[17:18]
	v_add_f64 v[25:26], v[2:3], v[19:20]
	v_add_f64 v[2:3], v[2:3], -v[19:20]
	v_add_f64 v[0:1], v[0:1], v[17:18]
	v_mul_f64 v[8:9], v[8:9], 0.5
	v_mul_f64 v[19:20], v[25:26], 0.5
	;; [unrolled: 1-line block ×3, first 2 shown]
	s_waitcnt vmcnt(2)
	v_mul_f64 v[17:18], v[8:9], v[6:7]
	v_fma_f64 v[25:26], v[19:20], v[6:7], v[2:3]
	v_fma_f64 v[6:7], v[19:20], v[6:7], -v[2:3]
	v_fma_f64 v[27:28], v[0:1], 0.5, v[17:18]
	v_fma_f64 v[17:18], v[0:1], 0.5, -v[17:18]
	v_fma_f64 v[2:3], -v[4:5], v[8:9], v[25:26]
	v_fma_f64 v[6:7], -v[4:5], v[8:9], v[6:7]
	v_lshlrev_b64 v[8:9], 4, v[77:78]
	v_mov_b32_e32 v77, v69
	v_add_co_u32 v8, s0, s1, v8
	v_add_co_ci_u32_e64 v9, s0, s4, v9, s0
	v_fma_f64 v[0:1], v[19:20], v[4:5], v[27:28]
	v_fma_f64 v[4:5], -v[19:20], v[4:5], v[17:18]
	v_add_nc_u32_e32 v27, v134, v11
	ds_write_b128 v12, v[0:3]
	ds_write_b128 v10, v[4:7] offset:46400
	ds_read_b128 v[0:3], v27
	ds_read_b128 v[4:7], v10 offset:44800
	global_load_dwordx4 v[17:20], v[8:9], off
	s_waitcnt lgkmcnt(0)
	v_add_f64 v[8:9], v[0:1], -v[4:5]
	v_add_f64 v[11:12], v[2:3], v[6:7]
	v_add_f64 v[2:3], v[2:3], -v[6:7]
	v_add_f64 v[0:1], v[0:1], v[4:5]
	v_mul_f64 v[6:7], v[8:9], 0.5
	v_mul_f64 v[8:9], v[11:12], 0.5
	v_mul_f64 v[2:3], v[2:3], 0.5
	s_waitcnt vmcnt(2)
	v_mul_f64 v[4:5], v[6:7], v[15:16]
	v_fma_f64 v[11:12], v[8:9], v[15:16], v[2:3]
	v_fma_f64 v[15:16], v[8:9], v[15:16], -v[2:3]
	v_fma_f64 v[25:26], v[0:1], 0.5, v[4:5]
	v_fma_f64 v[4:5], v[0:1], 0.5, -v[4:5]
	v_fma_f64 v[2:3], -v[13:14], v[6:7], v[11:12]
	v_fma_f64 v[6:7], -v[13:14], v[6:7], v[15:16]
	v_fma_f64 v[0:1], v[8:9], v[13:14], v[25:26]
	v_fma_f64 v[4:5], -v[8:9], v[13:14], v[4:5]
	v_lshlrev_b64 v[8:9], 4, v[76:77]
	v_mov_b32_e32 v76, v69
	ds_write_b128 v27, v[0:3]
	ds_write_b128 v10, v[4:7] offset:44800
	v_add_co_u32 v8, s0, s1, v8
	ds_read_b128 v[0:3], v136
	ds_read_b128 v[4:7], v10 offset:43200
	v_add_co_ci_u32_e64 v9, s0, s4, v9, s0
	global_load_dwordx4 v[11:14], v[8:9], off
	s_waitcnt lgkmcnt(0)
	v_add_f64 v[8:9], v[0:1], -v[4:5]
	v_add_f64 v[15:16], v[2:3], v[6:7]
	v_add_f64 v[2:3], v[2:3], -v[6:7]
	v_add_f64 v[0:1], v[0:1], v[4:5]
	v_mul_f64 v[6:7], v[8:9], 0.5
	v_mul_f64 v[8:9], v[15:16], 0.5
	v_mul_f64 v[2:3], v[2:3], 0.5
	s_waitcnt vmcnt(2)
	v_mul_f64 v[4:5], v[6:7], v[23:24]
	v_fma_f64 v[15:16], v[8:9], v[23:24], v[2:3]
	v_fma_f64 v[23:24], v[8:9], v[23:24], -v[2:3]
	v_fma_f64 v[25:26], v[0:1], 0.5, v[4:5]
	v_fma_f64 v[4:5], v[0:1], 0.5, -v[4:5]
	v_fma_f64 v[2:3], -v[21:22], v[6:7], v[15:16]
	v_fma_f64 v[6:7], -v[21:22], v[6:7], v[23:24]
	v_fma_f64 v[0:1], v[8:9], v[21:22], v[25:26]
	v_fma_f64 v[4:5], -v[8:9], v[21:22], v[4:5]
	v_lshlrev_b64 v[8:9], 4, v[75:76]
	v_mov_b32_e32 v75, v69
	ds_write_b128 v136, v[0:3]
	ds_write_b128 v10, v[4:7] offset:43200
	v_add_co_u32 v8, s0, s1, v8
	ds_read_b128 v[0:3], v141
	ds_read_b128 v[4:7], v10 offset:41600
	v_add_co_ci_u32_e64 v9, s0, s4, v9, s0
	;; [unrolled: 27-line block ×4, first 2 shown]
	global_load_dwordx4 v[11:14], v[8:9], off
	s_waitcnt lgkmcnt(0)
	v_add_f64 v[8:9], v[0:1], -v[4:5]
	v_add_f64 v[19:20], v[2:3], v[6:7]
	v_add_f64 v[2:3], v[2:3], -v[6:7]
	v_add_f64 v[0:1], v[0:1], v[4:5]
	v_mul_f64 v[6:7], v[8:9], 0.5
	v_mul_f64 v[8:9], v[19:20], 0.5
	;; [unrolled: 1-line block ×3, first 2 shown]
	s_waitcnt vmcnt(2)
	v_mul_f64 v[4:5], v[6:7], v[23:24]
	v_fma_f64 v[19:20], v[8:9], v[23:24], v[2:3]
	v_fma_f64 v[23:24], v[8:9], v[23:24], -v[2:3]
	v_fma_f64 v[25:26], v[0:1], 0.5, v[4:5]
	v_fma_f64 v[4:5], v[0:1], 0.5, -v[4:5]
	v_fma_f64 v[2:3], -v[21:22], v[6:7], v[19:20]
	v_fma_f64 v[6:7], -v[21:22], v[6:7], v[23:24]
	v_fma_f64 v[0:1], v[8:9], v[21:22], v[25:26]
	v_fma_f64 v[4:5], -v[8:9], v[21:22], v[4:5]
	v_lshlrev_b64 v[8:9], 4, v[72:73]
	ds_write_b128 v139, v[0:3]
	ds_write_b128 v10, v[4:7] offset:38400
	v_add_co_u32 v8, s0, s1, v8
	ds_read_b128 v[0:3], v138
	ds_read_b128 v[4:7], v10 offset:36800
	v_add_co_ci_u32_e64 v9, s0, s4, v9, s0
	global_load_dwordx4 v[19:22], v[8:9], off
	s_waitcnt lgkmcnt(0)
	v_add_f64 v[8:9], v[0:1], -v[4:5]
	v_add_f64 v[23:24], v[2:3], v[6:7]
	v_add_f64 v[2:3], v[2:3], -v[6:7]
	v_add_f64 v[0:1], v[0:1], v[4:5]
	v_mul_f64 v[6:7], v[8:9], 0.5
	v_mul_f64 v[8:9], v[23:24], 0.5
	v_mul_f64 v[2:3], v[2:3], 0.5
	s_waitcnt vmcnt(2)
	v_mul_f64 v[4:5], v[6:7], v[17:18]
	v_fma_f64 v[23:24], v[8:9], v[17:18], v[2:3]
	v_fma_f64 v[17:18], v[8:9], v[17:18], -v[2:3]
	v_fma_f64 v[25:26], v[0:1], 0.5, v[4:5]
	v_fma_f64 v[4:5], v[0:1], 0.5, -v[4:5]
	v_fma_f64 v[2:3], -v[15:16], v[6:7], v[23:24]
	v_fma_f64 v[6:7], -v[15:16], v[6:7], v[17:18]
	v_fma_f64 v[0:1], v[8:9], v[15:16], v[25:26]
	v_fma_f64 v[4:5], -v[8:9], v[15:16], v[4:5]
	v_lshlrev_b64 v[8:9], 4, v[68:69]
	v_add_nc_u32_e32 v68, 0x44c, v64
	ds_write_b128 v138, v[0:3]
	ds_write_b128 v10, v[4:7] offset:36800
	v_add_co_u32 v8, s0, s1, v8
	ds_read_b128 v[0:3], v137
	ds_read_b128 v[4:7], v10 offset:35200
	v_add_co_ci_u32_e64 v9, s0, s4, v9, s0
	global_load_dwordx4 v[15:18], v[8:9], off
	s_waitcnt lgkmcnt(0)
	v_add_f64 v[8:9], v[0:1], -v[4:5]
	v_add_f64 v[23:24], v[2:3], v[6:7]
	v_add_f64 v[2:3], v[2:3], -v[6:7]
	v_add_f64 v[0:1], v[0:1], v[4:5]
	v_mul_f64 v[6:7], v[8:9], 0.5
	v_mul_f64 v[8:9], v[23:24], 0.5
	v_mul_f64 v[2:3], v[2:3], 0.5
	s_waitcnt vmcnt(2)
	v_mul_f64 v[4:5], v[6:7], v[13:14]
	v_fma_f64 v[23:24], v[8:9], v[13:14], v[2:3]
	v_fma_f64 v[13:14], v[8:9], v[13:14], -v[2:3]
	v_fma_f64 v[25:26], v[0:1], 0.5, v[4:5]
	v_fma_f64 v[4:5], v[0:1], 0.5, -v[4:5]
	v_fma_f64 v[2:3], -v[11:12], v[6:7], v[23:24]
	v_fma_f64 v[6:7], -v[11:12], v[6:7], v[13:14]
	v_fma_f64 v[0:1], v[8:9], v[11:12], v[25:26]
	v_fma_f64 v[4:5], -v[8:9], v[11:12], v[4:5]
	v_lshlrev_b64 v[8:9], 4, v[68:69]
	v_add_nc_u32_e32 v68, 0x4b0, v64
	;; [unrolled: 27-line block ×3, first 2 shown]
	ds_write_b128 v135, v[0:3]
	ds_write_b128 v10, v[4:7] offset:33600
	v_add_co_u32 v8, s0, s1, v8
	ds_read_b128 v[0:3], v132 offset:16000
	ds_read_b128 v[4:7], v10 offset:32000
	v_add_co_ci_u32_e64 v9, s0, s4, v9, s0
	global_load_dwordx4 v[19:22], v[8:9], off
	s_waitcnt lgkmcnt(0)
	v_add_f64 v[8:9], v[0:1], -v[4:5]
	v_add_f64 v[23:24], v[2:3], v[6:7]
	v_add_f64 v[2:3], v[2:3], -v[6:7]
	v_add_f64 v[0:1], v[0:1], v[4:5]
	v_mul_f64 v[6:7], v[8:9], 0.5
	v_mul_f64 v[8:9], v[23:24], 0.5
	;; [unrolled: 1-line block ×3, first 2 shown]
	s_waitcnt vmcnt(2)
	v_mul_f64 v[4:5], v[6:7], v[17:18]
	v_fma_f64 v[23:24], v[8:9], v[17:18], v[2:3]
	v_fma_f64 v[17:18], v[8:9], v[17:18], -v[2:3]
	v_fma_f64 v[25:26], v[0:1], 0.5, v[4:5]
	v_fma_f64 v[4:5], v[0:1], 0.5, -v[4:5]
	v_fma_f64 v[2:3], -v[15:16], v[6:7], v[23:24]
	v_fma_f64 v[6:7], -v[15:16], v[6:7], v[17:18]
	v_fma_f64 v[0:1], v[8:9], v[15:16], v[25:26]
	v_fma_f64 v[4:5], -v[8:9], v[15:16], v[4:5]
	v_lshlrev_b64 v[8:9], 4, v[68:69]
	v_add_nc_u32_e32 v68, 0x578, v64
	ds_write_b128 v132, v[0:3] offset:16000
	ds_write_b128 v10, v[4:7] offset:32000
	v_add_co_u32 v8, s0, s1, v8
	ds_read_b128 v[0:3], v132 offset:17600
	ds_read_b128 v[4:7], v10 offset:30400
	v_add_co_ci_u32_e64 v9, s0, s4, v9, s0
	global_load_dwordx4 v[15:18], v[8:9], off
	s_waitcnt lgkmcnt(0)
	v_add_f64 v[8:9], v[0:1], -v[4:5]
	v_add_f64 v[23:24], v[2:3], v[6:7]
	v_add_f64 v[2:3], v[2:3], -v[6:7]
	v_add_f64 v[0:1], v[0:1], v[4:5]
	v_mul_f64 v[6:7], v[8:9], 0.5
	v_mul_f64 v[8:9], v[23:24], 0.5
	;; [unrolled: 1-line block ×3, first 2 shown]
	s_waitcnt vmcnt(2)
	v_mul_f64 v[4:5], v[6:7], v[13:14]
	v_fma_f64 v[23:24], v[8:9], v[13:14], v[2:3]
	v_fma_f64 v[13:14], v[8:9], v[13:14], -v[2:3]
	v_fma_f64 v[25:26], v[0:1], 0.5, v[4:5]
	v_fma_f64 v[4:5], v[0:1], 0.5, -v[4:5]
	v_fma_f64 v[2:3], -v[11:12], v[6:7], v[23:24]
	v_fma_f64 v[6:7], -v[11:12], v[6:7], v[13:14]
	v_fma_f64 v[0:1], v[8:9], v[11:12], v[25:26]
	v_fma_f64 v[4:5], -v[8:9], v[11:12], v[4:5]
	v_lshlrev_b64 v[8:9], 4, v[68:69]
	ds_write_b128 v132, v[0:3] offset:17600
	ds_write_b128 v10, v[4:7] offset:30400
	v_add_co_u32 v8, s0, s1, v8
	ds_read_b128 v[0:3], v132 offset:19200
	ds_read_b128 v[4:7], v10 offset:28800
	v_add_co_ci_u32_e64 v9, s0, s4, v9, s0
	global_load_dwordx4 v[11:14], v[8:9], off
	s_waitcnt lgkmcnt(0)
	v_add_f64 v[8:9], v[0:1], -v[4:5]
	v_add_f64 v[23:24], v[2:3], v[6:7]
	v_add_f64 v[2:3], v[2:3], -v[6:7]
	v_add_f64 v[0:1], v[0:1], v[4:5]
	v_mul_f64 v[6:7], v[8:9], 0.5
	v_mul_f64 v[8:9], v[23:24], 0.5
	;; [unrolled: 1-line block ×3, first 2 shown]
	s_waitcnt vmcnt(2)
	v_mul_f64 v[4:5], v[6:7], v[21:22]
	v_fma_f64 v[23:24], v[8:9], v[21:22], v[2:3]
	v_fma_f64 v[21:22], v[8:9], v[21:22], -v[2:3]
	v_fma_f64 v[25:26], v[0:1], 0.5, v[4:5]
	v_fma_f64 v[4:5], v[0:1], 0.5, -v[4:5]
	v_fma_f64 v[2:3], -v[19:20], v[6:7], v[23:24]
	v_fma_f64 v[6:7], -v[19:20], v[6:7], v[21:22]
	v_fma_f64 v[0:1], v[8:9], v[19:20], v[25:26]
	v_fma_f64 v[4:5], -v[8:9], v[19:20], v[4:5]
	ds_write_b128 v132, v[0:3] offset:19200
	ds_write_b128 v10, v[4:7] offset:28800
	ds_read_b128 v[0:3], v132 offset:20800
	ds_read_b128 v[4:7], v10 offset:27200
	s_waitcnt lgkmcnt(0)
	v_add_f64 v[8:9], v[0:1], -v[4:5]
	v_add_f64 v[19:20], v[2:3], v[6:7]
	v_add_f64 v[2:3], v[2:3], -v[6:7]
	v_add_f64 v[0:1], v[0:1], v[4:5]
	v_mul_f64 v[6:7], v[8:9], 0.5
	v_mul_f64 v[8:9], v[19:20], 0.5
	v_mul_f64 v[2:3], v[2:3], 0.5
	s_waitcnt vmcnt(1)
	v_mul_f64 v[4:5], v[6:7], v[17:18]
	v_fma_f64 v[19:20], v[8:9], v[17:18], v[2:3]
	v_fma_f64 v[17:18], v[8:9], v[17:18], -v[2:3]
	v_fma_f64 v[21:22], v[0:1], 0.5, v[4:5]
	v_fma_f64 v[4:5], v[0:1], 0.5, -v[4:5]
	v_fma_f64 v[2:3], -v[15:16], v[6:7], v[19:20]
	v_fma_f64 v[6:7], -v[15:16], v[6:7], v[17:18]
	v_fma_f64 v[0:1], v[8:9], v[15:16], v[21:22]
	v_fma_f64 v[4:5], -v[8:9], v[15:16], v[4:5]
	ds_write_b128 v132, v[0:3] offset:20800
	ds_write_b128 v10, v[4:7] offset:27200
	ds_read_b128 v[0:3], v132 offset:22400
	ds_read_b128 v[4:7], v10 offset:25600
	s_waitcnt lgkmcnt(0)
	v_add_f64 v[8:9], v[0:1], -v[4:5]
	v_add_f64 v[15:16], v[2:3], v[6:7]
	v_add_f64 v[2:3], v[2:3], -v[6:7]
	v_add_f64 v[0:1], v[0:1], v[4:5]
	v_mul_f64 v[6:7], v[8:9], 0.5
	v_mul_f64 v[8:9], v[15:16], 0.5
	;; [unrolled: 1-line block ×3, first 2 shown]
	s_waitcnt vmcnt(0)
	v_mul_f64 v[4:5], v[6:7], v[13:14]
	v_fma_f64 v[15:16], v[8:9], v[13:14], v[2:3]
	v_fma_f64 v[13:14], v[8:9], v[13:14], -v[2:3]
	v_fma_f64 v[17:18], v[0:1], 0.5, v[4:5]
	v_fma_f64 v[4:5], v[0:1], 0.5, -v[4:5]
	v_fma_f64 v[2:3], -v[11:12], v[6:7], v[15:16]
	v_fma_f64 v[6:7], -v[11:12], v[6:7], v[13:14]
	v_fma_f64 v[0:1], v[8:9], v[11:12], v[17:18]
	v_fma_f64 v[4:5], -v[8:9], v[11:12], v[4:5]
	ds_write_b128 v132, v[0:3] offset:22400
	ds_write_b128 v10, v[4:7] offset:25600
	s_waitcnt lgkmcnt(0)
	s_barrier
	buffer_gl0_inv
	s_and_saveexec_b32 s0, vcc_lo
	s_cbranch_execz .LBB0_20
; %bb.18:
	v_mul_lo_u32 v2, s3, v70
	v_mul_lo_u32 v3, s2, v71
	v_mad_u64_u32 v[0:1], null, s2, v70, 0
	v_lshl_add_u32 v26, v64, 4, 0
	v_mov_b32_e32 v65, v69
	v_lshlrev_b64 v[10:11], 4, v[66:67]
	v_add_nc_u32_e32 v68, 0x64, v64
	ds_read_b128 v[6:9], v26 offset:1600
	v_add3_u32 v1, v1, v3, v2
	ds_read_b128 v[2:5], v26
	v_lshlrev_b64 v[12:13], 4, v[64:65]
	v_lshlrev_b64 v[14:15], 4, v[68:69]
	v_add_nc_u32_e32 v68, 0xc8, v64
	v_lshlrev_b64 v[0:1], 4, v[0:1]
	v_lshlrev_b64 v[18:19], 4, v[68:69]
	v_add_nc_u32_e32 v68, 0x12c, v64
	v_add_co_u32 v0, vcc_lo, s10, v0
	v_add_co_ci_u32_e32 v1, vcc_lo, s11, v1, vcc_lo
	v_lshlrev_b64 v[20:21], 4, v[68:69]
	v_add_co_u32 v0, vcc_lo, v0, v10
	v_add_co_ci_u32_e32 v1, vcc_lo, v1, v11, vcc_lo
	v_add_nc_u32_e32 v68, 0x190, v64
	v_add_co_u32 v16, vcc_lo, v0, v12
	v_add_co_ci_u32_e32 v17, vcc_lo, v1, v13, vcc_lo
	ds_read_b128 v[10:13], v26 offset:46400
	v_add_co_u32 v14, vcc_lo, v0, v14
	v_add_co_ci_u32_e32 v15, vcc_lo, v1, v15, vcc_lo
	s_waitcnt lgkmcnt(1)
	global_store_dwordx4 v[16:17], v[2:5], off
	ds_read_b128 v[2:5], v26 offset:3200
	v_add_co_u32 v18, vcc_lo, v0, v18
	global_store_dwordx4 v[14:15], v[6:9], off
	ds_read_b128 v[6:9], v26 offset:4800
	ds_read_b128 v[14:17], v26 offset:6400
	v_lshlrev_b64 v[22:23], 4, v[68:69]
	v_add_co_ci_u32_e32 v19, vcc_lo, v1, v19, vcc_lo
	v_add_co_u32 v20, vcc_lo, v0, v20
	v_add_co_ci_u32_e32 v21, vcc_lo, v1, v21, vcc_lo
	v_add_nc_u32_e32 v68, 0x1f4, v64
	v_add_co_u32 v22, vcc_lo, v0, v22
	v_add_co_ci_u32_e32 v23, vcc_lo, v1, v23, vcc_lo
	s_waitcnt lgkmcnt(2)
	global_store_dwordx4 v[18:19], v[2:5], off
	v_lshlrev_b64 v[18:19], 4, v[68:69]
	v_add_nc_u32_e32 v68, 0x258, v64
	s_waitcnt lgkmcnt(1)
	global_store_dwordx4 v[20:21], v[6:9], off
	s_waitcnt lgkmcnt(0)
	global_store_dwordx4 v[22:23], v[14:17], off
	ds_read_b128 v[2:5], v26 offset:8000
	ds_read_b128 v[6:9], v26 offset:9600
	;; [unrolled: 1-line block ×3, first 2 shown]
	v_lshlrev_b64 v[20:21], 4, v[68:69]
	v_add_nc_u32_e32 v68, 0x2bc, v64
	v_add_co_u32 v18, vcc_lo, v0, v18
	v_add_co_ci_u32_e32 v19, vcc_lo, v1, v19, vcc_lo
	v_lshlrev_b64 v[22:23], 4, v[68:69]
	v_add_co_u32 v20, vcc_lo, v0, v20
	v_add_co_ci_u32_e32 v21, vcc_lo, v1, v21, vcc_lo
	v_add_nc_u32_e32 v68, 0x320, v64
	v_add_co_u32 v22, vcc_lo, v0, v22
	v_add_co_ci_u32_e32 v23, vcc_lo, v1, v23, vcc_lo
	v_lshlrev_b64 v[24:25], 4, v[68:69]
	v_add_nc_u32_e32 v68, 0x384, v64
	s_waitcnt lgkmcnt(2)
	global_store_dwordx4 v[18:19], v[2:5], off
	s_waitcnt lgkmcnt(1)
	global_store_dwordx4 v[20:21], v[6:9], off
	;; [unrolled: 2-line block ×3, first 2 shown]
	ds_read_b128 v[2:5], v26 offset:12800
	ds_read_b128 v[6:9], v26 offset:14400
	;; [unrolled: 1-line block ×3, first 2 shown]
	v_lshlrev_b64 v[18:19], 4, v[68:69]
	v_add_nc_u32_e32 v68, 0x3e8, v64
	v_add_co_u32 v20, vcc_lo, v0, v24
	v_add_co_ci_u32_e32 v21, vcc_lo, v1, v25, vcc_lo
	v_lshlrev_b64 v[22:23], 4, v[68:69]
	v_add_co_u32 v18, vcc_lo, v0, v18
	v_add_co_ci_u32_e32 v19, vcc_lo, v1, v19, vcc_lo
	v_add_nc_u32_e32 v68, 0x44c, v64
	v_add_co_u32 v22, vcc_lo, v0, v22
	v_add_co_ci_u32_e32 v23, vcc_lo, v1, v23, vcc_lo
	s_waitcnt lgkmcnt(2)
	global_store_dwordx4 v[20:21], v[2:5], off
	v_lshlrev_b64 v[20:21], 4, v[68:69]
	v_add_nc_u32_e32 v68, 0x4b0, v64
	s_waitcnt lgkmcnt(1)
	global_store_dwordx4 v[18:19], v[6:9], off
	s_waitcnt lgkmcnt(0)
	global_store_dwordx4 v[22:23], v[14:17], off
	ds_read_b128 v[2:5], v26 offset:17600
	ds_read_b128 v[6:9], v26 offset:19200
	;; [unrolled: 1-line block ×3, first 2 shown]
	v_lshlrev_b64 v[18:19], 4, v[68:69]
	v_add_nc_u32_e32 v68, 0x514, v64
	v_add_co_u32 v20, vcc_lo, v0, v20
	v_add_co_ci_u32_e32 v21, vcc_lo, v1, v21, vcc_lo
	v_lshlrev_b64 v[22:23], 4, v[68:69]
	v_add_co_u32 v18, vcc_lo, v0, v18
	v_add_co_ci_u32_e32 v19, vcc_lo, v1, v19, vcc_lo
	v_add_nc_u32_e32 v68, 0x578, v64
	v_add_co_u32 v22, vcc_lo, v0, v22
	v_add_co_ci_u32_e32 v23, vcc_lo, v1, v23, vcc_lo
	s_waitcnt lgkmcnt(2)
	global_store_dwordx4 v[20:21], v[2:5], off
	s_waitcnt lgkmcnt(1)
	global_store_dwordx4 v[18:19], v[6:9], off
	v_lshlrev_b64 v[24:25], 4, v[68:69]
	v_add_nc_u32_e32 v68, 0x5dc, v64
	ds_read_b128 v[2:5], v26 offset:22400
	s_waitcnt lgkmcnt(1)
	global_store_dwordx4 v[22:23], v[14:17], off
	ds_read_b128 v[6:9], v26 offset:24000
	ds_read_b128 v[14:17], v26 offset:25600
	v_lshlrev_b64 v[18:19], 4, v[68:69]
	v_add_nc_u32_e32 v68, 0x640, v64
	v_add_co_u32 v20, vcc_lo, v0, v24
	v_add_co_ci_u32_e32 v21, vcc_lo, v1, v25, vcc_lo
	v_lshlrev_b64 v[22:23], 4, v[68:69]
	v_add_co_u32 v18, vcc_lo, v0, v18
	v_add_co_ci_u32_e32 v19, vcc_lo, v1, v19, vcc_lo
	v_add_nc_u32_e32 v68, 0x6a4, v64
	v_add_co_u32 v22, vcc_lo, v0, v22
	v_add_co_ci_u32_e32 v23, vcc_lo, v1, v23, vcc_lo
	s_waitcnt lgkmcnt(2)
	global_store_dwordx4 v[20:21], v[2:5], off
	v_lshlrev_b64 v[20:21], 4, v[68:69]
	v_add_nc_u32_e32 v68, 0x708, v64
	s_waitcnt lgkmcnt(1)
	global_store_dwordx4 v[18:19], v[6:9], off
	s_waitcnt lgkmcnt(0)
	global_store_dwordx4 v[22:23], v[14:17], off
	ds_read_b128 v[2:5], v26 offset:27200
	ds_read_b128 v[6:9], v26 offset:28800
	;; [unrolled: 1-line block ×3, first 2 shown]
	v_lshlrev_b64 v[18:19], 4, v[68:69]
	v_add_nc_u32_e32 v68, 0x76c, v64
	v_add_co_u32 v20, vcc_lo, v0, v20
	v_add_co_ci_u32_e32 v21, vcc_lo, v1, v21, vcc_lo
	v_lshlrev_b64 v[22:23], 4, v[68:69]
	v_add_co_u32 v18, vcc_lo, v0, v18
	v_add_co_ci_u32_e32 v19, vcc_lo, v1, v19, vcc_lo
	v_add_nc_u32_e32 v68, 0x7d0, v64
	v_add_co_u32 v22, vcc_lo, v0, v22
	v_add_co_ci_u32_e32 v23, vcc_lo, v1, v23, vcc_lo
	v_lshlrev_b64 v[24:25], 4, v[68:69]
	v_add_nc_u32_e32 v68, 0x834, v64
	s_waitcnt lgkmcnt(2)
	global_store_dwordx4 v[20:21], v[2:5], off
	s_waitcnt lgkmcnt(1)
	global_store_dwordx4 v[18:19], v[6:9], off
	s_waitcnt lgkmcnt(0)
	global_store_dwordx4 v[22:23], v[14:17], off
	ds_read_b128 v[2:5], v26 offset:32000
	ds_read_b128 v[6:9], v26 offset:33600
	;; [unrolled: 1-line block ×3, first 2 shown]
	v_lshlrev_b64 v[18:19], 4, v[68:69]
	v_add_nc_u32_e32 v68, 0x898, v64
	v_add_co_u32 v20, vcc_lo, v0, v24
	v_add_co_ci_u32_e32 v21, vcc_lo, v1, v25, vcc_lo
	v_lshlrev_b64 v[22:23], 4, v[68:69]
	v_add_co_u32 v18, vcc_lo, v0, v18
	v_add_co_ci_u32_e32 v19, vcc_lo, v1, v19, vcc_lo
	v_add_nc_u32_e32 v68, 0x8fc, v64
	v_add_co_u32 v22, vcc_lo, v0, v22
	v_add_co_ci_u32_e32 v23, vcc_lo, v1, v23, vcc_lo
	s_waitcnt lgkmcnt(2)
	global_store_dwordx4 v[20:21], v[2:5], off
	s_waitcnt lgkmcnt(1)
	global_store_dwordx4 v[18:19], v[6:9], off
	;; [unrolled: 2-line block ×3, first 2 shown]
	v_lshlrev_b64 v[20:21], 4, v[68:69]
	v_add_nc_u32_e32 v68, 0x960, v64
	ds_read_b128 v[2:5], v26 offset:36800
	ds_read_b128 v[6:9], v26 offset:38400
	;; [unrolled: 1-line block ×3, first 2 shown]
	v_lshlrev_b64 v[18:19], 4, v[68:69]
	v_add_nc_u32_e32 v68, 0x9c4, v64
	v_add_co_u32 v20, vcc_lo, v0, v20
	v_add_co_ci_u32_e32 v21, vcc_lo, v1, v21, vcc_lo
	v_lshlrev_b64 v[22:23], 4, v[68:69]
	v_add_nc_u32_e32 v68, 0xa28, v64
	v_add_co_u32 v18, vcc_lo, v0, v18
	v_add_co_ci_u32_e32 v19, vcc_lo, v1, v19, vcc_lo
	v_lshlrev_b64 v[24:25], 4, v[68:69]
	v_add_nc_u32_e32 v68, 0xa8c, v64
	v_add_co_u32 v22, vcc_lo, v0, v22
	v_add_co_ci_u32_e32 v23, vcc_lo, v1, v23, vcc_lo
	s_waitcnt lgkmcnt(2)
	global_store_dwordx4 v[20:21], v[2:5], off
	s_waitcnt lgkmcnt(1)
	global_store_dwordx4 v[18:19], v[6:9], off
	v_lshlrev_b64 v[18:19], 4, v[68:69]
	v_add_nc_u32_e32 v68, 0xaf0, v64
	s_waitcnt lgkmcnt(0)
	global_store_dwordx4 v[22:23], v[14:17], off
	ds_read_b128 v[2:5], v26 offset:41600
	ds_read_b128 v[6:9], v26 offset:43200
	;; [unrolled: 1-line block ×3, first 2 shown]
	v_add_co_u32 v20, vcc_lo, v0, v24
	v_lshlrev_b64 v[22:23], 4, v[68:69]
	v_add_nc_u32_e32 v68, 0xb54, v64
	v_add_co_ci_u32_e32 v21, vcc_lo, v1, v25, vcc_lo
	v_add_co_u32 v18, vcc_lo, v0, v18
	v_lshlrev_b64 v[24:25], 4, v[68:69]
	v_add_co_ci_u32_e32 v19, vcc_lo, v1, v19, vcc_lo
	v_add_co_u32 v22, vcc_lo, v0, v22
	v_add_co_ci_u32_e32 v23, vcc_lo, v1, v23, vcc_lo
	v_add_co_u32 v24, vcc_lo, v0, v24
	v_add_co_ci_u32_e32 v25, vcc_lo, v1, v25, vcc_lo
	v_cmp_eq_u32_e32 vcc_lo, 0x63, v64
	s_waitcnt lgkmcnt(2)
	global_store_dwordx4 v[20:21], v[2:5], off
	s_waitcnt lgkmcnt(1)
	global_store_dwordx4 v[18:19], v[6:9], off
	;; [unrolled: 2-line block ×3, first 2 shown]
	global_store_dwordx4 v[24:25], v[10:13], off
	s_and_b32 exec_lo, exec_lo, vcc_lo
	s_cbranch_execz .LBB0_20
; %bb.19:
	v_mov_b32_e32 v2, 0
	v_add_co_u32 v0, vcc_lo, 0xb800, v0
	v_add_co_ci_u32_e32 v1, vcc_lo, 0, v1, vcc_lo
	ds_read_b128 v[2:5], v2 offset:48000
	s_waitcnt lgkmcnt(0)
	global_store_dwordx4 v[0:1], v[2:5], off offset:896
.LBB0_20:
	s_endpgm
	.section	.rodata,"a",@progbits
	.p2align	6, 0x0
	.amdhsa_kernel fft_rtc_fwd_len3000_factors_10_3_10_10_wgs_100_tpt_100_halfLds_dp_op_CI_CI_unitstride_sbrr_R2C_dirReg
		.amdhsa_group_segment_fixed_size 0
		.amdhsa_private_segment_fixed_size 0
		.amdhsa_kernarg_size 104
		.amdhsa_user_sgpr_count 6
		.amdhsa_user_sgpr_private_segment_buffer 1
		.amdhsa_user_sgpr_dispatch_ptr 0
		.amdhsa_user_sgpr_queue_ptr 0
		.amdhsa_user_sgpr_kernarg_segment_ptr 1
		.amdhsa_user_sgpr_dispatch_id 0
		.amdhsa_user_sgpr_flat_scratch_init 0
		.amdhsa_user_sgpr_private_segment_size 0
		.amdhsa_wavefront_size32 1
		.amdhsa_uses_dynamic_stack 0
		.amdhsa_system_sgpr_private_segment_wavefront_offset 0
		.amdhsa_system_sgpr_workgroup_id_x 1
		.amdhsa_system_sgpr_workgroup_id_y 0
		.amdhsa_system_sgpr_workgroup_id_z 0
		.amdhsa_system_sgpr_workgroup_info 0
		.amdhsa_system_vgpr_workitem_id 0
		.amdhsa_next_free_vgpr 211
		.amdhsa_next_free_sgpr 27
		.amdhsa_reserve_vcc 1
		.amdhsa_reserve_flat_scratch 0
		.amdhsa_float_round_mode_32 0
		.amdhsa_float_round_mode_16_64 0
		.amdhsa_float_denorm_mode_32 3
		.amdhsa_float_denorm_mode_16_64 3
		.amdhsa_dx10_clamp 1
		.amdhsa_ieee_mode 1
		.amdhsa_fp16_overflow 0
		.amdhsa_workgroup_processor_mode 1
		.amdhsa_memory_ordered 1
		.amdhsa_forward_progress 0
		.amdhsa_shared_vgpr_count 0
		.amdhsa_exception_fp_ieee_invalid_op 0
		.amdhsa_exception_fp_denorm_src 0
		.amdhsa_exception_fp_ieee_div_zero 0
		.amdhsa_exception_fp_ieee_overflow 0
		.amdhsa_exception_fp_ieee_underflow 0
		.amdhsa_exception_fp_ieee_inexact 0
		.amdhsa_exception_int_div_zero 0
	.end_amdhsa_kernel
	.text
.Lfunc_end0:
	.size	fft_rtc_fwd_len3000_factors_10_3_10_10_wgs_100_tpt_100_halfLds_dp_op_CI_CI_unitstride_sbrr_R2C_dirReg, .Lfunc_end0-fft_rtc_fwd_len3000_factors_10_3_10_10_wgs_100_tpt_100_halfLds_dp_op_CI_CI_unitstride_sbrr_R2C_dirReg
                                        ; -- End function
	.section	.AMDGPU.csdata,"",@progbits
; Kernel info:
; codeLenInByte = 25968
; NumSgprs: 29
; NumVgprs: 211
; ScratchSize: 0
; MemoryBound: 0
; FloatMode: 240
; IeeeMode: 1
; LDSByteSize: 0 bytes/workgroup (compile time only)
; SGPRBlocks: 3
; VGPRBlocks: 26
; NumSGPRsForWavesPerEU: 29
; NumVGPRsForWavesPerEU: 211
; Occupancy: 4
; WaveLimiterHint : 1
; COMPUTE_PGM_RSRC2:SCRATCH_EN: 0
; COMPUTE_PGM_RSRC2:USER_SGPR: 6
; COMPUTE_PGM_RSRC2:TRAP_HANDLER: 0
; COMPUTE_PGM_RSRC2:TGID_X_EN: 1
; COMPUTE_PGM_RSRC2:TGID_Y_EN: 0
; COMPUTE_PGM_RSRC2:TGID_Z_EN: 0
; COMPUTE_PGM_RSRC2:TIDIG_COMP_CNT: 0
	.text
	.p2alignl 6, 3214868480
	.fill 48, 4, 3214868480
	.type	__hip_cuid_c96a1182ca1d3474,@object ; @__hip_cuid_c96a1182ca1d3474
	.section	.bss,"aw",@nobits
	.globl	__hip_cuid_c96a1182ca1d3474
__hip_cuid_c96a1182ca1d3474:
	.byte	0                               ; 0x0
	.size	__hip_cuid_c96a1182ca1d3474, 1

	.ident	"AMD clang version 19.0.0git (https://github.com/RadeonOpenCompute/llvm-project roc-6.4.0 25133 c7fe45cf4b819c5991fe208aaa96edf142730f1d)"
	.section	".note.GNU-stack","",@progbits
	.addrsig
	.addrsig_sym __hip_cuid_c96a1182ca1d3474
	.amdgpu_metadata
---
amdhsa.kernels:
  - .args:
      - .actual_access:  read_only
        .address_space:  global
        .offset:         0
        .size:           8
        .value_kind:     global_buffer
      - .offset:         8
        .size:           8
        .value_kind:     by_value
      - .actual_access:  read_only
        .address_space:  global
        .offset:         16
        .size:           8
        .value_kind:     global_buffer
      - .actual_access:  read_only
        .address_space:  global
        .offset:         24
        .size:           8
        .value_kind:     global_buffer
      - .actual_access:  read_only
        .address_space:  global
        .offset:         32
        .size:           8
        .value_kind:     global_buffer
      - .offset:         40
        .size:           8
        .value_kind:     by_value
      - .actual_access:  read_only
        .address_space:  global
        .offset:         48
        .size:           8
        .value_kind:     global_buffer
      - .actual_access:  read_only
        .address_space:  global
        .offset:         56
        .size:           8
        .value_kind:     global_buffer
      - .offset:         64
        .size:           4
        .value_kind:     by_value
      - .actual_access:  read_only
        .address_space:  global
        .offset:         72
        .size:           8
        .value_kind:     global_buffer
      - .actual_access:  read_only
        .address_space:  global
        .offset:         80
        .size:           8
        .value_kind:     global_buffer
      - .actual_access:  read_only
        .address_space:  global
        .offset:         88
        .size:           8
        .value_kind:     global_buffer
      - .actual_access:  write_only
        .address_space:  global
        .offset:         96
        .size:           8
        .value_kind:     global_buffer
    .group_segment_fixed_size: 0
    .kernarg_segment_align: 8
    .kernarg_segment_size: 104
    .language:       OpenCL C
    .language_version:
      - 2
      - 0
    .max_flat_workgroup_size: 100
    .name:           fft_rtc_fwd_len3000_factors_10_3_10_10_wgs_100_tpt_100_halfLds_dp_op_CI_CI_unitstride_sbrr_R2C_dirReg
    .private_segment_fixed_size: 0
    .sgpr_count:     29
    .sgpr_spill_count: 0
    .symbol:         fft_rtc_fwd_len3000_factors_10_3_10_10_wgs_100_tpt_100_halfLds_dp_op_CI_CI_unitstride_sbrr_R2C_dirReg.kd
    .uniform_work_group_size: 1
    .uses_dynamic_stack: false
    .vgpr_count:     211
    .vgpr_spill_count: 0
    .wavefront_size: 32
    .workgroup_processor_mode: 1
amdhsa.target:   amdgcn-amd-amdhsa--gfx1030
amdhsa.version:
  - 1
  - 2
...

	.end_amdgpu_metadata
